;; amdgpu-corpus repo=pytorch/pytorch kind=compiled arch=gfx90a opt=O3
	.text
	.amdgcn_target "amdgcn-amd-amdhsa--gfx90a"
	.amdhsa_code_object_version 6
	.section	.text._ZN2at6native12_GLOBAL__N_127reflection_pad2d_out_kernelIhEEvPKT_PS3_lliiiiiii,"axG",@progbits,_ZN2at6native12_GLOBAL__N_127reflection_pad2d_out_kernelIhEEvPKT_PS3_lliiiiiii,comdat
	.globl	_ZN2at6native12_GLOBAL__N_127reflection_pad2d_out_kernelIhEEvPKT_PS3_lliiiiiii ; -- Begin function _ZN2at6native12_GLOBAL__N_127reflection_pad2d_out_kernelIhEEvPKT_PS3_lliiiiiii
	.p2align	8
	.type	_ZN2at6native12_GLOBAL__N_127reflection_pad2d_out_kernelIhEEvPKT_PS3_lliiiiiii,@function
_ZN2at6native12_GLOBAL__N_127reflection_pad2d_out_kernelIhEEvPKT_PS3_lliiiiiii: ; @_ZN2at6native12_GLOBAL__N_127reflection_pad2d_out_kernelIhEEvPKT_PS3_lliiiiiii
; %bb.0:
	s_load_dword s9, s[4:5], 0x4c
	s_load_dwordx4 s[0:3], s[4:5], 0x20
	s_load_dwordx8 s[12:19], s[4:5], 0x0
	v_mov_b32_e32 v1, 0
	s_waitcnt lgkmcnt(0)
	s_and_b32 s9, s9, 0xffff
	s_ashr_i32 s11, s2, 31
	s_add_u32 s31, s2, s16
	s_mul_i32 s6, s6, s9
	s_mov_b32 s10, s2
	s_addc_u32 s33, s11, s17
	s_ashr_i32 s2, s3, 31
	v_add_u32_e32 v0, s6, v0
	s_add_u32 s6, s31, s3
	s_addc_u32 s3, s33, s2
	s_ashr_i32 s25, s0, 31
	s_add_u32 s34, s0, s18
	s_mov_b32 s24, s0
	s_addc_u32 s35, s25, s19
	s_ashr_i32 s0, s1, 31
	s_add_u32 s9, s34, s1
	s_addc_u32 s30, s35, s0
	s_mul_i32 s0, s6, s30
	s_mul_hi_u32 s1, s6, s9
	s_add_i32 s0, s1, s0
	s_mul_i32 s1, s3, s9
	s_add_i32 s1, s0, s1
	s_mul_i32 s0, s6, s9
	v_cmp_gt_i64_e32 vcc, s[0:1], v[0:1]
	s_and_saveexec_b64 s[0:1], vcc
	s_cbranch_execz .LBB0_5
; %bb.1:
	s_load_dwordx4 s[20:23], s[4:5], 0x30
	s_mov_b32 s2, 0
	s_cmp_lg_u64 s[2:3], 0
	s_cbranch_scc0 .LBB0_6
; %bb.2:
	s_ashr_i32 s26, s3, 31
	s_add_u32 s0, s6, s26
	s_mov_b32 s27, s26
	s_addc_u32 s1, s3, s26
	s_xor_b64 s[28:29], s[0:1], s[26:27]
	v_cvt_f32_u32_e32 v1, s28
	v_cvt_f32_u32_e32 v2, s29
	s_sub_u32 s0, 0, s28
	s_subb_u32 s1, 0, s29
	v_madmk_f32 v1, v2, 0x4f800000, v1
	v_rcp_f32_e32 v1, v1
	v_mul_f32_e32 v1, 0x5f7ffffc, v1
	v_mul_f32_e32 v2, 0x2f800000, v1
	v_trunc_f32_e32 v2, v2
	v_madmk_f32 v1, v2, 0xcf800000, v1
	v_cvt_u32_f32_e32 v2, v2
	v_cvt_u32_f32_e32 v1, v1
	v_mul_lo_u32 v3, s0, v2
	v_mul_hi_u32 v5, s0, v1
	v_mul_lo_u32 v4, s1, v1
	v_add_u32_e32 v3, v5, v3
	v_add_u32_e32 v3, v3, v4
	v_mul_lo_u32 v6, s0, v1
	v_mul_lo_u32 v5, v1, v3
	v_mul_hi_u32 v7, v1, v6
	v_mul_hi_u32 v4, v1, v3
	v_add_co_u32_e32 v5, vcc, v7, v5
	v_addc_co_u32_e32 v4, vcc, 0, v4, vcc
	v_mul_hi_u32 v8, v2, v6
	v_mul_lo_u32 v6, v2, v6
	v_add_co_u32_e32 v5, vcc, v5, v6
	v_mul_hi_u32 v7, v2, v3
	v_addc_co_u32_e32 v4, vcc, v4, v8, vcc
	v_addc_co_u32_e32 v5, vcc, 0, v7, vcc
	v_mul_lo_u32 v3, v2, v3
	v_add_co_u32_e32 v3, vcc, v4, v3
	v_addc_co_u32_e32 v4, vcc, 0, v5, vcc
	v_add_co_u32_e32 v1, vcc, v1, v3
	v_addc_co_u32_e32 v2, vcc, v2, v4, vcc
	v_mul_lo_u32 v3, s0, v2
	v_mul_hi_u32 v4, s0, v1
	v_add_u32_e32 v3, v4, v3
	v_mul_lo_u32 v4, s1, v1
	v_add_u32_e32 v3, v3, v4
	v_mul_lo_u32 v5, s0, v1
	v_mul_hi_u32 v6, v2, v5
	v_mul_lo_u32 v7, v2, v5
	v_mul_lo_u32 v9, v1, v3
	v_mul_hi_u32 v5, v1, v5
	v_mul_hi_u32 v8, v1, v3
	v_add_co_u32_e32 v5, vcc, v5, v9
	v_addc_co_u32_e32 v8, vcc, 0, v8, vcc
	v_add_co_u32_e32 v5, vcc, v5, v7
	v_mul_hi_u32 v4, v2, v3
	v_addc_co_u32_e32 v5, vcc, v8, v6, vcc
	v_addc_co_u32_e32 v4, vcc, 0, v4, vcc
	v_mul_lo_u32 v3, v2, v3
	v_add_co_u32_e32 v3, vcc, v5, v3
	v_addc_co_u32_e32 v4, vcc, 0, v4, vcc
	v_add_co_u32_e32 v1, vcc, v1, v3
	v_addc_co_u32_e32 v4, vcc, v2, v4, vcc
	v_ashrrev_i32_e64 v6, 31, 0
	v_add_co_u32_e32 v2, vcc, v0, v6
	v_addc_co_u32_e32 v3, vcc, 0, v6, vcc
	v_xor_b32_e32 v8, v2, v6
	v_xor_b32_e32 v7, v3, v6
	v_mad_u64_u32 v[2:3], s[0:1], v8, v4, 0
	v_mul_hi_u32 v5, v8, v1
	v_add_co_u32_e32 v9, vcc, v5, v2
	v_addc_co_u32_e32 v10, vcc, 0, v3, vcc
	v_mad_u64_u32 v[2:3], s[0:1], v7, v4, 0
	v_mad_u64_u32 v[4:5], s[0:1], v7, v1, 0
	v_add_co_u32_e32 v1, vcc, v9, v4
	v_addc_co_u32_e32 v1, vcc, v10, v5, vcc
	v_addc_co_u32_e32 v3, vcc, 0, v3, vcc
	v_add_co_u32_e32 v1, vcc, v1, v2
	v_addc_co_u32_e32 v4, vcc, 0, v3, vcc
	v_mul_lo_u32 v5, s29, v1
	v_mul_lo_u32 v9, s28, v4
	v_mad_u64_u32 v[2:3], s[0:1], s28, v1, 0
	v_add3_u32 v3, v3, v9, v5
	v_sub_u32_e32 v5, v7, v3
	v_mov_b32_e32 v9, s29
	v_sub_co_u32_e32 v2, vcc, v8, v2
	v_subb_co_u32_e64 v5, s[0:1], v5, v9, vcc
	v_subrev_co_u32_e64 v8, s[0:1], s28, v2
	v_subbrev_co_u32_e64 v5, s[0:1], 0, v5, s[0:1]
	v_cmp_le_u32_e64 s[0:1], s29, v5
	v_cndmask_b32_e64 v9, 0, -1, s[0:1]
	v_cmp_le_u32_e64 s[0:1], s28, v8
	v_cndmask_b32_e64 v8, 0, -1, s[0:1]
	v_cmp_eq_u32_e64 s[0:1], s29, v5
	v_cndmask_b32_e64 v5, v9, v8, s[0:1]
	v_add_co_u32_e64 v8, s[0:1], 2, v1
	v_subb_co_u32_e32 v3, vcc, v7, v3, vcc
	v_addc_co_u32_e64 v9, s[0:1], 0, v4, s[0:1]
	v_cmp_le_u32_e32 vcc, s29, v3
	v_add_co_u32_e64 v10, s[0:1], 1, v1
	v_cndmask_b32_e64 v7, 0, -1, vcc
	v_cmp_le_u32_e32 vcc, s28, v2
	v_addc_co_u32_e64 v11, s[0:1], 0, v4, s[0:1]
	v_cndmask_b32_e64 v2, 0, -1, vcc
	v_cmp_eq_u32_e32 vcc, s29, v3
	v_cmp_ne_u32_e64 s[0:1], 0, v5
	v_cndmask_b32_e32 v2, v7, v2, vcc
	v_cmp_ne_u32_e32 vcc, 0, v2
	v_cndmask_b32_e64 v3, v10, v8, s[0:1]
	v_cndmask_b32_e64 v5, v11, v9, s[0:1]
	v_cndmask_b32_e32 v1, v1, v3, vcc
	v_xor_b32_e32 v3, s26, v6
	v_cndmask_b32_e32 v2, v4, v5, vcc
	v_xor_b32_e32 v1, v1, v3
	v_xor_b32_e32 v4, v2, v3
	v_sub_co_u32_e32 v2, vcc, v1, v3
	v_subb_co_u32_e32 v3, vcc, v4, v3, vcc
	s_cbranch_execnz .LBB0_4
.LBB0_3:
	v_cvt_f32_u32_e32 v1, s6
	s_sub_i32 s0, 0, s6
	v_rcp_iflag_f32_e32 v1, v1
	v_mul_f32_e32 v1, 0x4f7ffffe, v1
	v_cvt_u32_f32_e32 v1, v1
	v_mul_lo_u32 v2, s0, v1
	v_mul_hi_u32 v2, v1, v2
	v_add_u32_e32 v1, v1, v2
	v_mul_hi_u32 v1, v0, v1
	v_mul_lo_u32 v2, v1, s6
	v_sub_u32_e32 v2, v0, v2
	v_add_u32_e32 v3, 1, v1
	v_subrev_u32_e32 v4, s6, v2
	v_cmp_le_u32_e32 vcc, s6, v2
	v_cndmask_b32_e32 v2, v2, v4, vcc
	v_cndmask_b32_e32 v1, v1, v3, vcc
	v_add_u32_e32 v3, 1, v1
	v_cmp_le_u32_e32 vcc, s6, v2
	v_cndmask_b32_e32 v2, v1, v3, vcc
	v_mov_b32_e32 v3, 0
.LBB0_4:
	s_sub_u32 s0, 0, s24
	s_subb_u32 s1, 0, s25
	s_sub_u32 s4, 0, s10
	s_subb_u32 s5, 0, s11
	s_waitcnt lgkmcnt(0)
	s_add_i32 s2, s7, s20
	s_add_i32 s7, s8, s21
	s_mul_i32 s7, s7, s22
	s_add_i32 s2, s2, s7
	s_mul_i32 s7, s2, s19
	s_mul_hi_u32 s8, s2, s18
	s_add_i32 s8, s8, s7
	s_mul_i32 s7, s2, s18
	v_mul_lo_u32 v1, v3, s6
	v_mul_lo_u32 v6, v2, s3
	v_mad_u64_u32 v[4:5], s[18:19], v2, s6, 0
	v_add3_u32 v1, v5, v6, v1
	v_sub_co_u32_e32 v4, vcc, v0, v4
	v_subb_co_u32_e32 v5, vcc, 0, v1, vcc
	v_mov_b32_e32 v1, s11
	v_subrev_co_u32_e32 v0, vcc, s10, v4
	v_subb_co_u32_e32 v1, vcc, v5, v1, vcc
	v_ashrrev_i32_e32 v6, 31, v1
	v_xor_b32_e32 v0, v0, v6
	v_xor_b32_e32 v1, v1, v6
	v_sub_co_u32_e32 v0, vcc, v0, v6
	v_subb_co_u32_e32 v1, vcc, v1, v6, vcc
	v_mov_b32_e32 v6, s33
	v_subrev_co_u32_e32 v7, vcc, s31, v4
	v_subb_co_u32_e32 v6, vcc, v5, v6, vcc
	v_add_co_u32_e32 v7, vcc, 1, v7
	v_addc_co_u32_e32 v6, vcc, 0, v6, vcc
	v_ashrrev_i32_e32 v8, 31, v6
	v_xor_b32_e32 v7, v7, v8
	v_xor_b32_e32 v6, v6, v8
	v_sub_co_u32_e32 v7, vcc, v7, v8
	v_cmp_gt_i64_e64 s[18:19], s[4:5], 0
	v_subb_co_u32_e32 v6, vcc, v6, v8, vcc
	s_and_b64 s[18:19], s[18:19], exec
	v_mov_b32_e32 v8, s25
	v_subrev_co_u32_e32 v9, vcc, s24, v2
	s_cselect_b32 s18, s5, 0
	s_cselect_b32 s19, s4, 0
	v_cmp_gt_i64_e64 s[4:5], s[0:1], 0
	v_subb_co_u32_e32 v8, vcc, v3, v8, vcc
	s_and_b64 s[4:5], s[4:5], exec
	v_ashrrev_i32_e32 v10, 31, v8
	s_cselect_b32 s20, s1, 0
	s_cselect_b32 s21, s0, 0
	v_cmp_gt_i64_e64 s[0:1], s[10:11], 0
	v_xor_b32_e32 v9, v9, v10
	s_and_b64 s[0:1], s[0:1], exec
	v_cmp_gt_i64_e64 s[4:5], s[24:25], 0
	v_xor_b32_e32 v8, v8, v10
	v_sub_co_u32_e32 v9, vcc, v9, v10
	s_cselect_b32 s1, s11, 0
	s_cselect_b32 s0, s10, 0
	s_and_b64 s[4:5], s[4:5], exec
	v_subb_co_u32_e32 v8, vcc, v8, v10, vcc
	s_cselect_b32 s5, s25, 0
	s_cselect_b32 s4, s24, 0
	v_mov_b32_e32 v10, s35
	v_subrev_co_u32_e32 v11, vcc, s34, v2
	s_not_b64 s[0:1], s[0:1]
	v_subb_co_u32_e32 v10, vcc, v3, v10, vcc
	s_not_b64 s[4:5], s[4:5]
	v_add_co_u32_e32 v11, vcc, 1, v11
	s_add_u32 s22, s34, s24
	v_addc_co_u32_e32 v10, vcc, 0, v10, vcc
	s_addc_u32 s23, s35, s25
	v_ashrrev_i32_e32 v12, 31, v10
	s_add_u32 s4, s22, s4
	v_xor_b32_e32 v11, v11, v12
	s_addc_u32 s5, s23, s5
	v_xor_b32_e32 v10, v10, v12
	v_sub_co_u32_e32 v11, vcc, v11, v12
	s_add_u32 s4, s4, s21
	v_subb_co_u32_e32 v10, vcc, v10, v12, vcc
	s_addc_u32 s5, s5, s20
	s_add_u32 s4, s4, s7
	v_add_co_u32_e32 v11, vcc, v2, v11
	s_addc_u32 s5, s5, s8
	v_addc_co_u32_e32 v10, vcc, v3, v10, vcc
	v_mov_b32_e32 v12, s5
	v_sub_co_u32_e32 v11, vcc, s4, v11
	s_add_u32 s4, s31, s10
	v_subb_co_u32_e32 v10, vcc, v12, v10, vcc
	s_addc_u32 s5, s33, s11
	v_add_co_u32_e32 v9, vcc, v11, v9
	s_add_u32 s0, s4, s0
	v_addc_co_u32_e32 v8, vcc, v10, v8, vcc
	s_addc_u32 s1, s5, s1
	s_add_u32 s0, s0, s19
	v_add_co_u32_e32 v7, vcc, v4, v7
	s_addc_u32 s1, s1, s18
	v_addc_co_u32_e32 v6, vcc, v5, v6, vcc
	v_mov_b32_e32 v10, s1
	v_sub_co_u32_e32 v7, vcc, s0, v7
	v_subb_co_u32_e32 v6, vcc, v10, v6, vcc
	v_mov_b32_e32 v10, s13
	v_add_co_u32_e32 v7, vcc, s12, v7
	v_addc_co_u32_e32 v6, vcc, v10, v6, vcc
	v_add_co_u32_e32 v0, vcc, v7, v0
	v_addc_co_u32_e32 v1, vcc, v6, v1, vcc
	v_mad_u64_u32 v[0:1], s[0:1], v9, s16, v[0:1]
	v_mul_lo_u32 v6, v9, s17
	v_mul_lo_u32 v7, v8, s16
	v_add3_u32 v1, v7, v1, v6
	global_load_ubyte v6, v[0:1], off
	v_mov_b32_e32 v7, s2
	s_mul_i32 s30, s30, s2
	v_mad_u64_u32 v[2:3], s[0:1], s9, v7, v[2:3]
	v_mov_b32_e32 v0, s14
	v_mov_b32_e32 v1, s15
	v_add_u32_e32 v3, s30, v3
	v_mul_lo_u32 v3, v3, s6
	v_mul_lo_u32 v7, v2, s3
	v_mad_u64_u32 v[0:1], s[0:1], v2, s6, v[0:1]
	v_add3_u32 v1, v3, v1, v7
	v_add_co_u32_e32 v0, vcc, v0, v4
	v_addc_co_u32_e32 v1, vcc, v1, v5, vcc
	s_waitcnt vmcnt(0)
	global_store_byte v[0:1], v6, off
.LBB0_5:
	s_endpgm
.LBB0_6:
                                        ; implicit-def: $vgpr2_vgpr3
	s_branch .LBB0_3
	.section	.rodata,"a",@progbits
	.p2align	6, 0x0
	.amdhsa_kernel _ZN2at6native12_GLOBAL__N_127reflection_pad2d_out_kernelIhEEvPKT_PS3_lliiiiiii
		.amdhsa_group_segment_fixed_size 0
		.amdhsa_private_segment_fixed_size 0
		.amdhsa_kernarg_size 320
		.amdhsa_user_sgpr_count 6
		.amdhsa_user_sgpr_private_segment_buffer 1
		.amdhsa_user_sgpr_dispatch_ptr 0
		.amdhsa_user_sgpr_queue_ptr 0
		.amdhsa_user_sgpr_kernarg_segment_ptr 1
		.amdhsa_user_sgpr_dispatch_id 0
		.amdhsa_user_sgpr_flat_scratch_init 0
		.amdhsa_user_sgpr_kernarg_preload_length 0
		.amdhsa_user_sgpr_kernarg_preload_offset 0
		.amdhsa_user_sgpr_private_segment_size 0
		.amdhsa_uses_dynamic_stack 0
		.amdhsa_system_sgpr_private_segment_wavefront_offset 0
		.amdhsa_system_sgpr_workgroup_id_x 1
		.amdhsa_system_sgpr_workgroup_id_y 1
		.amdhsa_system_sgpr_workgroup_id_z 1
		.amdhsa_system_sgpr_workgroup_info 0
		.amdhsa_system_vgpr_workitem_id 0
		.amdhsa_next_free_vgpr 13
		.amdhsa_next_free_sgpr 36
		.amdhsa_accum_offset 16
		.amdhsa_reserve_vcc 1
		.amdhsa_reserve_flat_scratch 0
		.amdhsa_float_round_mode_32 0
		.amdhsa_float_round_mode_16_64 0
		.amdhsa_float_denorm_mode_32 3
		.amdhsa_float_denorm_mode_16_64 3
		.amdhsa_dx10_clamp 1
		.amdhsa_ieee_mode 1
		.amdhsa_fp16_overflow 0
		.amdhsa_tg_split 0
		.amdhsa_exception_fp_ieee_invalid_op 0
		.amdhsa_exception_fp_denorm_src 0
		.amdhsa_exception_fp_ieee_div_zero 0
		.amdhsa_exception_fp_ieee_overflow 0
		.amdhsa_exception_fp_ieee_underflow 0
		.amdhsa_exception_fp_ieee_inexact 0
		.amdhsa_exception_int_div_zero 0
	.end_amdhsa_kernel
	.section	.text._ZN2at6native12_GLOBAL__N_127reflection_pad2d_out_kernelIhEEvPKT_PS3_lliiiiiii,"axG",@progbits,_ZN2at6native12_GLOBAL__N_127reflection_pad2d_out_kernelIhEEvPKT_PS3_lliiiiiii,comdat
.Lfunc_end0:
	.size	_ZN2at6native12_GLOBAL__N_127reflection_pad2d_out_kernelIhEEvPKT_PS3_lliiiiiii, .Lfunc_end0-_ZN2at6native12_GLOBAL__N_127reflection_pad2d_out_kernelIhEEvPKT_PS3_lliiiiiii
                                        ; -- End function
	.section	.AMDGPU.csdata,"",@progbits
; Kernel info:
; codeLenInByte = 1520
; NumSgprs: 40
; NumVgprs: 13
; NumAgprs: 0
; TotalNumVgprs: 13
; ScratchSize: 0
; MemoryBound: 0
; FloatMode: 240
; IeeeMode: 1
; LDSByteSize: 0 bytes/workgroup (compile time only)
; SGPRBlocks: 4
; VGPRBlocks: 1
; NumSGPRsForWavesPerEU: 40
; NumVGPRsForWavesPerEU: 13
; AccumOffset: 16
; Occupancy: 8
; WaveLimiterHint : 0
; COMPUTE_PGM_RSRC2:SCRATCH_EN: 0
; COMPUTE_PGM_RSRC2:USER_SGPR: 6
; COMPUTE_PGM_RSRC2:TRAP_HANDLER: 0
; COMPUTE_PGM_RSRC2:TGID_X_EN: 1
; COMPUTE_PGM_RSRC2:TGID_Y_EN: 1
; COMPUTE_PGM_RSRC2:TGID_Z_EN: 1
; COMPUTE_PGM_RSRC2:TIDIG_COMP_CNT: 0
; COMPUTE_PGM_RSRC3_GFX90A:ACCUM_OFFSET: 3
; COMPUTE_PGM_RSRC3_GFX90A:TG_SPLIT: 0
	.section	.text._ZN2at6native12_GLOBAL__N_127reflection_pad2d_out_kernelIaEEvPKT_PS3_lliiiiiii,"axG",@progbits,_ZN2at6native12_GLOBAL__N_127reflection_pad2d_out_kernelIaEEvPKT_PS3_lliiiiiii,comdat
	.globl	_ZN2at6native12_GLOBAL__N_127reflection_pad2d_out_kernelIaEEvPKT_PS3_lliiiiiii ; -- Begin function _ZN2at6native12_GLOBAL__N_127reflection_pad2d_out_kernelIaEEvPKT_PS3_lliiiiiii
	.p2align	8
	.type	_ZN2at6native12_GLOBAL__N_127reflection_pad2d_out_kernelIaEEvPKT_PS3_lliiiiiii,@function
_ZN2at6native12_GLOBAL__N_127reflection_pad2d_out_kernelIaEEvPKT_PS3_lliiiiiii: ; @_ZN2at6native12_GLOBAL__N_127reflection_pad2d_out_kernelIaEEvPKT_PS3_lliiiiiii
; %bb.0:
	s_load_dword s9, s[4:5], 0x4c
	s_load_dwordx4 s[0:3], s[4:5], 0x20
	s_load_dwordx8 s[12:19], s[4:5], 0x0
	v_mov_b32_e32 v1, 0
	s_waitcnt lgkmcnt(0)
	s_and_b32 s9, s9, 0xffff
	s_ashr_i32 s11, s2, 31
	s_add_u32 s31, s2, s16
	s_mul_i32 s6, s6, s9
	s_mov_b32 s10, s2
	s_addc_u32 s33, s11, s17
	s_ashr_i32 s2, s3, 31
	v_add_u32_e32 v0, s6, v0
	s_add_u32 s6, s31, s3
	s_addc_u32 s3, s33, s2
	s_ashr_i32 s25, s0, 31
	s_add_u32 s34, s0, s18
	s_mov_b32 s24, s0
	s_addc_u32 s35, s25, s19
	s_ashr_i32 s0, s1, 31
	s_add_u32 s9, s34, s1
	s_addc_u32 s30, s35, s0
	s_mul_i32 s0, s6, s30
	s_mul_hi_u32 s1, s6, s9
	s_add_i32 s0, s1, s0
	s_mul_i32 s1, s3, s9
	s_add_i32 s1, s0, s1
	s_mul_i32 s0, s6, s9
	v_cmp_gt_i64_e32 vcc, s[0:1], v[0:1]
	s_and_saveexec_b64 s[0:1], vcc
	s_cbranch_execz .LBB1_5
; %bb.1:
	s_load_dwordx4 s[20:23], s[4:5], 0x30
	s_mov_b32 s2, 0
	s_cmp_lg_u64 s[2:3], 0
	s_cbranch_scc0 .LBB1_6
; %bb.2:
	s_ashr_i32 s26, s3, 31
	s_add_u32 s0, s6, s26
	s_mov_b32 s27, s26
	s_addc_u32 s1, s3, s26
	s_xor_b64 s[28:29], s[0:1], s[26:27]
	v_cvt_f32_u32_e32 v1, s28
	v_cvt_f32_u32_e32 v2, s29
	s_sub_u32 s0, 0, s28
	s_subb_u32 s1, 0, s29
	v_madmk_f32 v1, v2, 0x4f800000, v1
	v_rcp_f32_e32 v1, v1
	v_mul_f32_e32 v1, 0x5f7ffffc, v1
	v_mul_f32_e32 v2, 0x2f800000, v1
	v_trunc_f32_e32 v2, v2
	v_madmk_f32 v1, v2, 0xcf800000, v1
	v_cvt_u32_f32_e32 v2, v2
	v_cvt_u32_f32_e32 v1, v1
	v_mul_lo_u32 v3, s0, v2
	v_mul_hi_u32 v5, s0, v1
	v_mul_lo_u32 v4, s1, v1
	v_add_u32_e32 v3, v5, v3
	v_add_u32_e32 v3, v3, v4
	v_mul_lo_u32 v6, s0, v1
	v_mul_lo_u32 v5, v1, v3
	v_mul_hi_u32 v7, v1, v6
	v_mul_hi_u32 v4, v1, v3
	v_add_co_u32_e32 v5, vcc, v7, v5
	v_addc_co_u32_e32 v4, vcc, 0, v4, vcc
	v_mul_hi_u32 v8, v2, v6
	v_mul_lo_u32 v6, v2, v6
	v_add_co_u32_e32 v5, vcc, v5, v6
	v_mul_hi_u32 v7, v2, v3
	v_addc_co_u32_e32 v4, vcc, v4, v8, vcc
	v_addc_co_u32_e32 v5, vcc, 0, v7, vcc
	v_mul_lo_u32 v3, v2, v3
	v_add_co_u32_e32 v3, vcc, v4, v3
	v_addc_co_u32_e32 v4, vcc, 0, v5, vcc
	v_add_co_u32_e32 v1, vcc, v1, v3
	v_addc_co_u32_e32 v2, vcc, v2, v4, vcc
	v_mul_lo_u32 v3, s0, v2
	v_mul_hi_u32 v4, s0, v1
	v_add_u32_e32 v3, v4, v3
	v_mul_lo_u32 v4, s1, v1
	v_add_u32_e32 v3, v3, v4
	v_mul_lo_u32 v5, s0, v1
	v_mul_hi_u32 v6, v2, v5
	v_mul_lo_u32 v7, v2, v5
	v_mul_lo_u32 v9, v1, v3
	v_mul_hi_u32 v5, v1, v5
	v_mul_hi_u32 v8, v1, v3
	v_add_co_u32_e32 v5, vcc, v5, v9
	v_addc_co_u32_e32 v8, vcc, 0, v8, vcc
	v_add_co_u32_e32 v5, vcc, v5, v7
	v_mul_hi_u32 v4, v2, v3
	v_addc_co_u32_e32 v5, vcc, v8, v6, vcc
	v_addc_co_u32_e32 v4, vcc, 0, v4, vcc
	v_mul_lo_u32 v3, v2, v3
	v_add_co_u32_e32 v3, vcc, v5, v3
	v_addc_co_u32_e32 v4, vcc, 0, v4, vcc
	v_add_co_u32_e32 v1, vcc, v1, v3
	v_addc_co_u32_e32 v4, vcc, v2, v4, vcc
	v_ashrrev_i32_e64 v6, 31, 0
	v_add_co_u32_e32 v2, vcc, v0, v6
	v_addc_co_u32_e32 v3, vcc, 0, v6, vcc
	v_xor_b32_e32 v8, v2, v6
	v_xor_b32_e32 v7, v3, v6
	v_mad_u64_u32 v[2:3], s[0:1], v8, v4, 0
	v_mul_hi_u32 v5, v8, v1
	v_add_co_u32_e32 v9, vcc, v5, v2
	v_addc_co_u32_e32 v10, vcc, 0, v3, vcc
	v_mad_u64_u32 v[2:3], s[0:1], v7, v4, 0
	v_mad_u64_u32 v[4:5], s[0:1], v7, v1, 0
	v_add_co_u32_e32 v1, vcc, v9, v4
	v_addc_co_u32_e32 v1, vcc, v10, v5, vcc
	v_addc_co_u32_e32 v3, vcc, 0, v3, vcc
	v_add_co_u32_e32 v1, vcc, v1, v2
	v_addc_co_u32_e32 v4, vcc, 0, v3, vcc
	v_mul_lo_u32 v5, s29, v1
	v_mul_lo_u32 v9, s28, v4
	v_mad_u64_u32 v[2:3], s[0:1], s28, v1, 0
	v_add3_u32 v3, v3, v9, v5
	v_sub_u32_e32 v5, v7, v3
	v_mov_b32_e32 v9, s29
	v_sub_co_u32_e32 v2, vcc, v8, v2
	v_subb_co_u32_e64 v5, s[0:1], v5, v9, vcc
	v_subrev_co_u32_e64 v8, s[0:1], s28, v2
	v_subbrev_co_u32_e64 v5, s[0:1], 0, v5, s[0:1]
	v_cmp_le_u32_e64 s[0:1], s29, v5
	v_cndmask_b32_e64 v9, 0, -1, s[0:1]
	v_cmp_le_u32_e64 s[0:1], s28, v8
	v_cndmask_b32_e64 v8, 0, -1, s[0:1]
	v_cmp_eq_u32_e64 s[0:1], s29, v5
	v_cndmask_b32_e64 v5, v9, v8, s[0:1]
	v_add_co_u32_e64 v8, s[0:1], 2, v1
	v_subb_co_u32_e32 v3, vcc, v7, v3, vcc
	v_addc_co_u32_e64 v9, s[0:1], 0, v4, s[0:1]
	v_cmp_le_u32_e32 vcc, s29, v3
	v_add_co_u32_e64 v10, s[0:1], 1, v1
	v_cndmask_b32_e64 v7, 0, -1, vcc
	v_cmp_le_u32_e32 vcc, s28, v2
	v_addc_co_u32_e64 v11, s[0:1], 0, v4, s[0:1]
	v_cndmask_b32_e64 v2, 0, -1, vcc
	v_cmp_eq_u32_e32 vcc, s29, v3
	v_cmp_ne_u32_e64 s[0:1], 0, v5
	v_cndmask_b32_e32 v2, v7, v2, vcc
	v_cmp_ne_u32_e32 vcc, 0, v2
	v_cndmask_b32_e64 v3, v10, v8, s[0:1]
	v_cndmask_b32_e64 v5, v11, v9, s[0:1]
	v_cndmask_b32_e32 v1, v1, v3, vcc
	v_xor_b32_e32 v3, s26, v6
	v_cndmask_b32_e32 v2, v4, v5, vcc
	v_xor_b32_e32 v1, v1, v3
	v_xor_b32_e32 v4, v2, v3
	v_sub_co_u32_e32 v2, vcc, v1, v3
	v_subb_co_u32_e32 v3, vcc, v4, v3, vcc
	s_cbranch_execnz .LBB1_4
.LBB1_3:
	v_cvt_f32_u32_e32 v1, s6
	s_sub_i32 s0, 0, s6
	v_rcp_iflag_f32_e32 v1, v1
	v_mul_f32_e32 v1, 0x4f7ffffe, v1
	v_cvt_u32_f32_e32 v1, v1
	v_mul_lo_u32 v2, s0, v1
	v_mul_hi_u32 v2, v1, v2
	v_add_u32_e32 v1, v1, v2
	v_mul_hi_u32 v1, v0, v1
	v_mul_lo_u32 v2, v1, s6
	v_sub_u32_e32 v2, v0, v2
	v_add_u32_e32 v3, 1, v1
	v_subrev_u32_e32 v4, s6, v2
	v_cmp_le_u32_e32 vcc, s6, v2
	v_cndmask_b32_e32 v2, v2, v4, vcc
	v_cndmask_b32_e32 v1, v1, v3, vcc
	v_add_u32_e32 v3, 1, v1
	v_cmp_le_u32_e32 vcc, s6, v2
	v_cndmask_b32_e32 v2, v1, v3, vcc
	v_mov_b32_e32 v3, 0
.LBB1_4:
	s_sub_u32 s0, 0, s24
	s_subb_u32 s1, 0, s25
	s_sub_u32 s4, 0, s10
	s_subb_u32 s5, 0, s11
	s_waitcnt lgkmcnt(0)
	s_add_i32 s2, s7, s20
	s_add_i32 s7, s8, s21
	s_mul_i32 s7, s7, s22
	s_add_i32 s2, s2, s7
	s_mul_i32 s7, s2, s19
	s_mul_hi_u32 s8, s2, s18
	s_add_i32 s8, s8, s7
	s_mul_i32 s7, s2, s18
	v_mul_lo_u32 v1, v3, s6
	v_mul_lo_u32 v6, v2, s3
	v_mad_u64_u32 v[4:5], s[18:19], v2, s6, 0
	v_add3_u32 v1, v5, v6, v1
	v_sub_co_u32_e32 v4, vcc, v0, v4
	v_subb_co_u32_e32 v5, vcc, 0, v1, vcc
	v_mov_b32_e32 v1, s11
	v_subrev_co_u32_e32 v0, vcc, s10, v4
	v_subb_co_u32_e32 v1, vcc, v5, v1, vcc
	v_ashrrev_i32_e32 v6, 31, v1
	v_xor_b32_e32 v0, v0, v6
	v_xor_b32_e32 v1, v1, v6
	v_sub_co_u32_e32 v0, vcc, v0, v6
	v_subb_co_u32_e32 v1, vcc, v1, v6, vcc
	v_mov_b32_e32 v6, s33
	v_subrev_co_u32_e32 v7, vcc, s31, v4
	v_subb_co_u32_e32 v6, vcc, v5, v6, vcc
	v_add_co_u32_e32 v7, vcc, 1, v7
	v_addc_co_u32_e32 v6, vcc, 0, v6, vcc
	v_ashrrev_i32_e32 v8, 31, v6
	v_xor_b32_e32 v7, v7, v8
	v_xor_b32_e32 v6, v6, v8
	v_sub_co_u32_e32 v7, vcc, v7, v8
	v_cmp_gt_i64_e64 s[18:19], s[4:5], 0
	v_subb_co_u32_e32 v6, vcc, v6, v8, vcc
	s_and_b64 s[18:19], s[18:19], exec
	v_mov_b32_e32 v8, s25
	v_subrev_co_u32_e32 v9, vcc, s24, v2
	s_cselect_b32 s18, s5, 0
	s_cselect_b32 s19, s4, 0
	v_cmp_gt_i64_e64 s[4:5], s[0:1], 0
	v_subb_co_u32_e32 v8, vcc, v3, v8, vcc
	s_and_b64 s[4:5], s[4:5], exec
	v_ashrrev_i32_e32 v10, 31, v8
	s_cselect_b32 s20, s1, 0
	s_cselect_b32 s21, s0, 0
	v_cmp_gt_i64_e64 s[0:1], s[10:11], 0
	v_xor_b32_e32 v9, v9, v10
	s_and_b64 s[0:1], s[0:1], exec
	v_cmp_gt_i64_e64 s[4:5], s[24:25], 0
	v_xor_b32_e32 v8, v8, v10
	v_sub_co_u32_e32 v9, vcc, v9, v10
	s_cselect_b32 s1, s11, 0
	s_cselect_b32 s0, s10, 0
	s_and_b64 s[4:5], s[4:5], exec
	v_subb_co_u32_e32 v8, vcc, v8, v10, vcc
	s_cselect_b32 s5, s25, 0
	s_cselect_b32 s4, s24, 0
	v_mov_b32_e32 v10, s35
	v_subrev_co_u32_e32 v11, vcc, s34, v2
	s_not_b64 s[0:1], s[0:1]
	v_subb_co_u32_e32 v10, vcc, v3, v10, vcc
	s_not_b64 s[4:5], s[4:5]
	v_add_co_u32_e32 v11, vcc, 1, v11
	s_add_u32 s22, s34, s24
	v_addc_co_u32_e32 v10, vcc, 0, v10, vcc
	s_addc_u32 s23, s35, s25
	v_ashrrev_i32_e32 v12, 31, v10
	s_add_u32 s4, s22, s4
	v_xor_b32_e32 v11, v11, v12
	s_addc_u32 s5, s23, s5
	v_xor_b32_e32 v10, v10, v12
	v_sub_co_u32_e32 v11, vcc, v11, v12
	s_add_u32 s4, s4, s21
	v_subb_co_u32_e32 v10, vcc, v10, v12, vcc
	s_addc_u32 s5, s5, s20
	s_add_u32 s4, s4, s7
	v_add_co_u32_e32 v11, vcc, v2, v11
	s_addc_u32 s5, s5, s8
	v_addc_co_u32_e32 v10, vcc, v3, v10, vcc
	v_mov_b32_e32 v12, s5
	v_sub_co_u32_e32 v11, vcc, s4, v11
	s_add_u32 s4, s31, s10
	v_subb_co_u32_e32 v10, vcc, v12, v10, vcc
	s_addc_u32 s5, s33, s11
	v_add_co_u32_e32 v9, vcc, v11, v9
	s_add_u32 s0, s4, s0
	v_addc_co_u32_e32 v8, vcc, v10, v8, vcc
	s_addc_u32 s1, s5, s1
	s_add_u32 s0, s0, s19
	v_add_co_u32_e32 v7, vcc, v4, v7
	s_addc_u32 s1, s1, s18
	v_addc_co_u32_e32 v6, vcc, v5, v6, vcc
	v_mov_b32_e32 v10, s1
	v_sub_co_u32_e32 v7, vcc, s0, v7
	v_subb_co_u32_e32 v6, vcc, v10, v6, vcc
	v_mov_b32_e32 v10, s13
	v_add_co_u32_e32 v7, vcc, s12, v7
	v_addc_co_u32_e32 v6, vcc, v10, v6, vcc
	v_add_co_u32_e32 v0, vcc, v7, v0
	v_addc_co_u32_e32 v1, vcc, v6, v1, vcc
	v_mad_u64_u32 v[0:1], s[0:1], v9, s16, v[0:1]
	v_mul_lo_u32 v6, v9, s17
	v_mul_lo_u32 v7, v8, s16
	v_add3_u32 v1, v7, v1, v6
	global_load_ubyte v6, v[0:1], off
	v_mov_b32_e32 v7, s2
	s_mul_i32 s30, s30, s2
	v_mad_u64_u32 v[2:3], s[0:1], s9, v7, v[2:3]
	v_mov_b32_e32 v0, s14
	v_mov_b32_e32 v1, s15
	v_add_u32_e32 v3, s30, v3
	v_mul_lo_u32 v3, v3, s6
	v_mul_lo_u32 v7, v2, s3
	v_mad_u64_u32 v[0:1], s[0:1], v2, s6, v[0:1]
	v_add3_u32 v1, v3, v1, v7
	v_add_co_u32_e32 v0, vcc, v0, v4
	v_addc_co_u32_e32 v1, vcc, v1, v5, vcc
	s_waitcnt vmcnt(0)
	global_store_byte v[0:1], v6, off
.LBB1_5:
	s_endpgm
.LBB1_6:
                                        ; implicit-def: $vgpr2_vgpr3
	s_branch .LBB1_3
	.section	.rodata,"a",@progbits
	.p2align	6, 0x0
	.amdhsa_kernel _ZN2at6native12_GLOBAL__N_127reflection_pad2d_out_kernelIaEEvPKT_PS3_lliiiiiii
		.amdhsa_group_segment_fixed_size 0
		.amdhsa_private_segment_fixed_size 0
		.amdhsa_kernarg_size 320
		.amdhsa_user_sgpr_count 6
		.amdhsa_user_sgpr_private_segment_buffer 1
		.amdhsa_user_sgpr_dispatch_ptr 0
		.amdhsa_user_sgpr_queue_ptr 0
		.amdhsa_user_sgpr_kernarg_segment_ptr 1
		.amdhsa_user_sgpr_dispatch_id 0
		.amdhsa_user_sgpr_flat_scratch_init 0
		.amdhsa_user_sgpr_kernarg_preload_length 0
		.amdhsa_user_sgpr_kernarg_preload_offset 0
		.amdhsa_user_sgpr_private_segment_size 0
		.amdhsa_uses_dynamic_stack 0
		.amdhsa_system_sgpr_private_segment_wavefront_offset 0
		.amdhsa_system_sgpr_workgroup_id_x 1
		.amdhsa_system_sgpr_workgroup_id_y 1
		.amdhsa_system_sgpr_workgroup_id_z 1
		.amdhsa_system_sgpr_workgroup_info 0
		.amdhsa_system_vgpr_workitem_id 0
		.amdhsa_next_free_vgpr 13
		.amdhsa_next_free_sgpr 36
		.amdhsa_accum_offset 16
		.amdhsa_reserve_vcc 1
		.amdhsa_reserve_flat_scratch 0
		.amdhsa_float_round_mode_32 0
		.amdhsa_float_round_mode_16_64 0
		.amdhsa_float_denorm_mode_32 3
		.amdhsa_float_denorm_mode_16_64 3
		.amdhsa_dx10_clamp 1
		.amdhsa_ieee_mode 1
		.amdhsa_fp16_overflow 0
		.amdhsa_tg_split 0
		.amdhsa_exception_fp_ieee_invalid_op 0
		.amdhsa_exception_fp_denorm_src 0
		.amdhsa_exception_fp_ieee_div_zero 0
		.amdhsa_exception_fp_ieee_overflow 0
		.amdhsa_exception_fp_ieee_underflow 0
		.amdhsa_exception_fp_ieee_inexact 0
		.amdhsa_exception_int_div_zero 0
	.end_amdhsa_kernel
	.section	.text._ZN2at6native12_GLOBAL__N_127reflection_pad2d_out_kernelIaEEvPKT_PS3_lliiiiiii,"axG",@progbits,_ZN2at6native12_GLOBAL__N_127reflection_pad2d_out_kernelIaEEvPKT_PS3_lliiiiiii,comdat
.Lfunc_end1:
	.size	_ZN2at6native12_GLOBAL__N_127reflection_pad2d_out_kernelIaEEvPKT_PS3_lliiiiiii, .Lfunc_end1-_ZN2at6native12_GLOBAL__N_127reflection_pad2d_out_kernelIaEEvPKT_PS3_lliiiiiii
                                        ; -- End function
	.section	.AMDGPU.csdata,"",@progbits
; Kernel info:
; codeLenInByte = 1520
; NumSgprs: 40
; NumVgprs: 13
; NumAgprs: 0
; TotalNumVgprs: 13
; ScratchSize: 0
; MemoryBound: 0
; FloatMode: 240
; IeeeMode: 1
; LDSByteSize: 0 bytes/workgroup (compile time only)
; SGPRBlocks: 4
; VGPRBlocks: 1
; NumSGPRsForWavesPerEU: 40
; NumVGPRsForWavesPerEU: 13
; AccumOffset: 16
; Occupancy: 8
; WaveLimiterHint : 0
; COMPUTE_PGM_RSRC2:SCRATCH_EN: 0
; COMPUTE_PGM_RSRC2:USER_SGPR: 6
; COMPUTE_PGM_RSRC2:TRAP_HANDLER: 0
; COMPUTE_PGM_RSRC2:TGID_X_EN: 1
; COMPUTE_PGM_RSRC2:TGID_Y_EN: 1
; COMPUTE_PGM_RSRC2:TGID_Z_EN: 1
; COMPUTE_PGM_RSRC2:TIDIG_COMP_CNT: 0
; COMPUTE_PGM_RSRC3_GFX90A:ACCUM_OFFSET: 3
; COMPUTE_PGM_RSRC3_GFX90A:TG_SPLIT: 0
	.section	.text._ZN2at6native12_GLOBAL__N_127reflection_pad2d_out_kernelIiEEvPKT_PS3_lliiiiiii,"axG",@progbits,_ZN2at6native12_GLOBAL__N_127reflection_pad2d_out_kernelIiEEvPKT_PS3_lliiiiiii,comdat
	.globl	_ZN2at6native12_GLOBAL__N_127reflection_pad2d_out_kernelIiEEvPKT_PS3_lliiiiiii ; -- Begin function _ZN2at6native12_GLOBAL__N_127reflection_pad2d_out_kernelIiEEvPKT_PS3_lliiiiiii
	.p2align	8
	.type	_ZN2at6native12_GLOBAL__N_127reflection_pad2d_out_kernelIiEEvPKT_PS3_lliiiiiii,@function
_ZN2at6native12_GLOBAL__N_127reflection_pad2d_out_kernelIiEEvPKT_PS3_lliiiiiii: ; @_ZN2at6native12_GLOBAL__N_127reflection_pad2d_out_kernelIiEEvPKT_PS3_lliiiiiii
; %bb.0:
	s_load_dword s9, s[4:5], 0x4c
	s_load_dwordx4 s[0:3], s[4:5], 0x20
	s_load_dwordx8 s[12:19], s[4:5], 0x0
	v_mov_b32_e32 v1, 0
	s_waitcnt lgkmcnt(0)
	s_and_b32 s9, s9, 0xffff
	s_ashr_i32 s11, s2, 31
	s_add_u32 s31, s2, s16
	s_mul_i32 s6, s6, s9
	s_mov_b32 s10, s2
	s_addc_u32 s33, s11, s17
	s_ashr_i32 s2, s3, 31
	v_add_u32_e32 v0, s6, v0
	s_add_u32 s6, s31, s3
	s_addc_u32 s3, s33, s2
	s_ashr_i32 s25, s0, 31
	s_add_u32 s34, s0, s18
	s_mov_b32 s24, s0
	s_addc_u32 s35, s25, s19
	s_ashr_i32 s0, s1, 31
	s_add_u32 s9, s34, s1
	s_addc_u32 s30, s35, s0
	s_mul_i32 s0, s6, s30
	s_mul_hi_u32 s1, s6, s9
	s_add_i32 s0, s1, s0
	s_mul_i32 s1, s3, s9
	s_add_i32 s1, s0, s1
	s_mul_i32 s0, s6, s9
	v_cmp_gt_i64_e32 vcc, s[0:1], v[0:1]
	s_and_saveexec_b64 s[0:1], vcc
	s_cbranch_execz .LBB2_5
; %bb.1:
	s_load_dwordx4 s[20:23], s[4:5], 0x30
	s_mov_b32 s2, 0
	s_cmp_lg_u64 s[2:3], 0
	s_cbranch_scc0 .LBB2_6
; %bb.2:
	s_ashr_i32 s26, s3, 31
	s_add_u32 s0, s6, s26
	s_mov_b32 s27, s26
	s_addc_u32 s1, s3, s26
	s_xor_b64 s[28:29], s[0:1], s[26:27]
	v_cvt_f32_u32_e32 v1, s28
	v_cvt_f32_u32_e32 v2, s29
	s_sub_u32 s0, 0, s28
	s_subb_u32 s1, 0, s29
	v_madmk_f32 v1, v2, 0x4f800000, v1
	v_rcp_f32_e32 v1, v1
	v_mul_f32_e32 v1, 0x5f7ffffc, v1
	v_mul_f32_e32 v2, 0x2f800000, v1
	v_trunc_f32_e32 v2, v2
	v_madmk_f32 v1, v2, 0xcf800000, v1
	v_cvt_u32_f32_e32 v2, v2
	v_cvt_u32_f32_e32 v1, v1
	v_mul_lo_u32 v3, s0, v2
	v_mul_hi_u32 v5, s0, v1
	v_mul_lo_u32 v4, s1, v1
	v_add_u32_e32 v3, v5, v3
	v_add_u32_e32 v3, v3, v4
	v_mul_lo_u32 v6, s0, v1
	v_mul_lo_u32 v5, v1, v3
	v_mul_hi_u32 v7, v1, v6
	v_mul_hi_u32 v4, v1, v3
	v_add_co_u32_e32 v5, vcc, v7, v5
	v_addc_co_u32_e32 v4, vcc, 0, v4, vcc
	v_mul_hi_u32 v8, v2, v6
	v_mul_lo_u32 v6, v2, v6
	v_add_co_u32_e32 v5, vcc, v5, v6
	v_mul_hi_u32 v7, v2, v3
	v_addc_co_u32_e32 v4, vcc, v4, v8, vcc
	v_addc_co_u32_e32 v5, vcc, 0, v7, vcc
	v_mul_lo_u32 v3, v2, v3
	v_add_co_u32_e32 v3, vcc, v4, v3
	v_addc_co_u32_e32 v4, vcc, 0, v5, vcc
	v_add_co_u32_e32 v1, vcc, v1, v3
	v_addc_co_u32_e32 v2, vcc, v2, v4, vcc
	v_mul_lo_u32 v3, s0, v2
	v_mul_hi_u32 v4, s0, v1
	v_add_u32_e32 v3, v4, v3
	v_mul_lo_u32 v4, s1, v1
	v_add_u32_e32 v3, v3, v4
	v_mul_lo_u32 v5, s0, v1
	v_mul_hi_u32 v6, v2, v5
	v_mul_lo_u32 v7, v2, v5
	v_mul_lo_u32 v9, v1, v3
	v_mul_hi_u32 v5, v1, v5
	v_mul_hi_u32 v8, v1, v3
	v_add_co_u32_e32 v5, vcc, v5, v9
	v_addc_co_u32_e32 v8, vcc, 0, v8, vcc
	v_add_co_u32_e32 v5, vcc, v5, v7
	v_mul_hi_u32 v4, v2, v3
	v_addc_co_u32_e32 v5, vcc, v8, v6, vcc
	v_addc_co_u32_e32 v4, vcc, 0, v4, vcc
	v_mul_lo_u32 v3, v2, v3
	v_add_co_u32_e32 v3, vcc, v5, v3
	v_addc_co_u32_e32 v4, vcc, 0, v4, vcc
	v_add_co_u32_e32 v1, vcc, v1, v3
	v_addc_co_u32_e32 v4, vcc, v2, v4, vcc
	v_ashrrev_i32_e64 v6, 31, 0
	v_add_co_u32_e32 v2, vcc, v0, v6
	v_addc_co_u32_e32 v3, vcc, 0, v6, vcc
	v_xor_b32_e32 v8, v2, v6
	v_xor_b32_e32 v7, v3, v6
	v_mad_u64_u32 v[2:3], s[0:1], v8, v4, 0
	v_mul_hi_u32 v5, v8, v1
	v_add_co_u32_e32 v9, vcc, v5, v2
	v_addc_co_u32_e32 v10, vcc, 0, v3, vcc
	v_mad_u64_u32 v[2:3], s[0:1], v7, v4, 0
	v_mad_u64_u32 v[4:5], s[0:1], v7, v1, 0
	v_add_co_u32_e32 v1, vcc, v9, v4
	v_addc_co_u32_e32 v1, vcc, v10, v5, vcc
	v_addc_co_u32_e32 v3, vcc, 0, v3, vcc
	v_add_co_u32_e32 v1, vcc, v1, v2
	v_addc_co_u32_e32 v4, vcc, 0, v3, vcc
	v_mul_lo_u32 v5, s29, v1
	v_mul_lo_u32 v9, s28, v4
	v_mad_u64_u32 v[2:3], s[0:1], s28, v1, 0
	v_add3_u32 v3, v3, v9, v5
	v_sub_u32_e32 v5, v7, v3
	v_mov_b32_e32 v9, s29
	v_sub_co_u32_e32 v2, vcc, v8, v2
	v_subb_co_u32_e64 v5, s[0:1], v5, v9, vcc
	v_subrev_co_u32_e64 v8, s[0:1], s28, v2
	v_subbrev_co_u32_e64 v5, s[0:1], 0, v5, s[0:1]
	v_cmp_le_u32_e64 s[0:1], s29, v5
	v_cndmask_b32_e64 v9, 0, -1, s[0:1]
	v_cmp_le_u32_e64 s[0:1], s28, v8
	v_cndmask_b32_e64 v8, 0, -1, s[0:1]
	v_cmp_eq_u32_e64 s[0:1], s29, v5
	v_cndmask_b32_e64 v5, v9, v8, s[0:1]
	v_add_co_u32_e64 v8, s[0:1], 2, v1
	v_subb_co_u32_e32 v3, vcc, v7, v3, vcc
	v_addc_co_u32_e64 v9, s[0:1], 0, v4, s[0:1]
	v_cmp_le_u32_e32 vcc, s29, v3
	v_add_co_u32_e64 v10, s[0:1], 1, v1
	v_cndmask_b32_e64 v7, 0, -1, vcc
	v_cmp_le_u32_e32 vcc, s28, v2
	v_addc_co_u32_e64 v11, s[0:1], 0, v4, s[0:1]
	v_cndmask_b32_e64 v2, 0, -1, vcc
	v_cmp_eq_u32_e32 vcc, s29, v3
	v_cmp_ne_u32_e64 s[0:1], 0, v5
	v_cndmask_b32_e32 v2, v7, v2, vcc
	v_cmp_ne_u32_e32 vcc, 0, v2
	v_cndmask_b32_e64 v3, v10, v8, s[0:1]
	v_cndmask_b32_e64 v5, v11, v9, s[0:1]
	v_cndmask_b32_e32 v1, v1, v3, vcc
	v_xor_b32_e32 v3, s26, v6
	v_cndmask_b32_e32 v2, v4, v5, vcc
	v_xor_b32_e32 v1, v1, v3
	v_xor_b32_e32 v4, v2, v3
	v_sub_co_u32_e32 v2, vcc, v1, v3
	v_subb_co_u32_e32 v3, vcc, v4, v3, vcc
	s_cbranch_execnz .LBB2_4
.LBB2_3:
	v_cvt_f32_u32_e32 v1, s6
	s_sub_i32 s0, 0, s6
	v_rcp_iflag_f32_e32 v1, v1
	v_mul_f32_e32 v1, 0x4f7ffffe, v1
	v_cvt_u32_f32_e32 v1, v1
	v_mul_lo_u32 v2, s0, v1
	v_mul_hi_u32 v2, v1, v2
	v_add_u32_e32 v1, v1, v2
	v_mul_hi_u32 v1, v0, v1
	v_mul_lo_u32 v2, v1, s6
	v_sub_u32_e32 v2, v0, v2
	v_add_u32_e32 v3, 1, v1
	v_subrev_u32_e32 v4, s6, v2
	v_cmp_le_u32_e32 vcc, s6, v2
	v_cndmask_b32_e32 v2, v2, v4, vcc
	v_cndmask_b32_e32 v1, v1, v3, vcc
	v_add_u32_e32 v3, 1, v1
	v_cmp_le_u32_e32 vcc, s6, v2
	v_cndmask_b32_e32 v2, v1, v3, vcc
	v_mov_b32_e32 v3, 0
.LBB2_4:
	s_sub_u32 s0, 0, s24
	s_subb_u32 s1, 0, s25
	s_sub_u32 s4, 0, s10
	s_subb_u32 s5, 0, s11
	s_waitcnt lgkmcnt(0)
	s_add_i32 s2, s7, s20
	s_add_i32 s7, s8, s21
	s_mul_i32 s7, s7, s22
	s_add_i32 s2, s2, s7
	s_mul_i32 s7, s2, s19
	s_mul_hi_u32 s8, s2, s18
	s_add_i32 s8, s8, s7
	s_mul_i32 s7, s2, s18
	v_mul_lo_u32 v1, v3, s6
	v_mul_lo_u32 v6, v2, s3
	v_mad_u64_u32 v[4:5], s[18:19], v2, s6, 0
	v_add3_u32 v1, v5, v6, v1
	v_sub_co_u32_e32 v0, vcc, v0, v4
	v_subb_co_u32_e32 v1, vcc, 0, v1, vcc
	v_mov_b32_e32 v5, s11
	v_subrev_co_u32_e32 v4, vcc, s10, v0
	v_subb_co_u32_e32 v5, vcc, v1, v5, vcc
	v_ashrrev_i32_e32 v6, 31, v5
	v_xor_b32_e32 v4, v4, v6
	v_xor_b32_e32 v5, v5, v6
	v_sub_co_u32_e32 v4, vcc, v4, v6
	v_subb_co_u32_e32 v5, vcc, v5, v6, vcc
	v_mov_b32_e32 v6, s33
	v_subrev_co_u32_e32 v7, vcc, s31, v0
	v_subb_co_u32_e32 v6, vcc, v1, v6, vcc
	v_add_co_u32_e32 v7, vcc, 1, v7
	v_addc_co_u32_e32 v6, vcc, 0, v6, vcc
	v_ashrrev_i32_e32 v8, 31, v6
	v_xor_b32_e32 v7, v7, v8
	v_xor_b32_e32 v6, v6, v8
	v_sub_co_u32_e32 v9, vcc, v7, v8
	v_cmp_gt_i64_e64 s[18:19], s[4:5], 0
	v_subb_co_u32_e32 v8, vcc, v6, v8, vcc
	s_and_b64 s[18:19], s[18:19], exec
	v_mov_b32_e32 v6, s25
	v_subrev_co_u32_e32 v7, vcc, s24, v2
	s_cselect_b32 s18, s5, 0
	s_cselect_b32 s19, s4, 0
	v_cmp_gt_i64_e64 s[4:5], s[0:1], 0
	v_subb_co_u32_e32 v6, vcc, v3, v6, vcc
	s_and_b64 s[4:5], s[4:5], exec
	v_ashrrev_i32_e32 v10, 31, v6
	s_cselect_b32 s20, s1, 0
	s_cselect_b32 s21, s0, 0
	v_cmp_gt_i64_e64 s[0:1], s[10:11], 0
	v_xor_b32_e32 v7, v7, v10
	s_and_b64 s[0:1], s[0:1], exec
	v_cmp_gt_i64_e64 s[4:5], s[24:25], 0
	v_xor_b32_e32 v6, v6, v10
	v_sub_co_u32_e32 v7, vcc, v7, v10
	s_cselect_b32 s1, s11, 0
	s_cselect_b32 s0, s10, 0
	s_and_b64 s[4:5], s[4:5], exec
	v_subb_co_u32_e32 v6, vcc, v6, v10, vcc
	s_cselect_b32 s5, s25, 0
	s_cselect_b32 s4, s24, 0
	v_mov_b32_e32 v10, s35
	v_subrev_co_u32_e32 v11, vcc, s34, v2
	s_not_b64 s[0:1], s[0:1]
	v_subb_co_u32_e32 v10, vcc, v3, v10, vcc
	s_not_b64 s[4:5], s[4:5]
	v_add_co_u32_e32 v11, vcc, 1, v11
	s_add_u32 s22, s34, s24
	v_addc_co_u32_e32 v10, vcc, 0, v10, vcc
	s_addc_u32 s23, s35, s25
	v_ashrrev_i32_e32 v12, 31, v10
	s_add_u32 s4, s22, s4
	v_xor_b32_e32 v11, v11, v12
	s_addc_u32 s5, s23, s5
	v_xor_b32_e32 v10, v10, v12
	v_sub_co_u32_e32 v11, vcc, v11, v12
	s_add_u32 s4, s4, s21
	v_subb_co_u32_e32 v10, vcc, v10, v12, vcc
	s_addc_u32 s5, s5, s20
	s_add_u32 s4, s4, s7
	v_add_co_u32_e32 v11, vcc, v2, v11
	s_addc_u32 s5, s5, s8
	v_addc_co_u32_e32 v10, vcc, v3, v10, vcc
	v_mov_b32_e32 v12, s5
	v_sub_co_u32_e32 v11, vcc, s4, v11
	v_subb_co_u32_e32 v10, vcc, v12, v10, vcc
	v_add_co_u32_e32 v7, vcc, v11, v7
	v_addc_co_u32_e32 v6, vcc, v10, v6, vcc
	v_mul_lo_u32 v10, v6, s16
	v_mul_lo_u32 v11, v7, s17
	v_mad_u64_u32 v[6:7], s[4:5], v7, s16, 0
	s_add_u32 s4, s31, s10
	s_addc_u32 s5, s33, s11
	s_add_u32 s0, s4, s0
	s_addc_u32 s1, s5, s1
	s_add_u32 s0, s0, s19
	v_add_co_u32_e32 v9, vcc, v0, v9
	v_add3_u32 v7, v7, v11, v10
	s_addc_u32 s1, s1, s18
	v_addc_co_u32_e32 v10, vcc, v1, v8, vcc
	v_mov_b32_e32 v11, s1
	v_sub_co_u32_e32 v8, vcc, s0, v9
	v_subb_co_u32_e32 v9, vcc, v11, v10, vcc
	v_lshlrev_b64 v[8:9], 2, v[8:9]
	v_mov_b32_e32 v10, s13
	v_add_co_u32_e32 v8, vcc, s12, v8
	v_addc_co_u32_e32 v9, vcc, v10, v9, vcc
	v_lshlrev_b64 v[4:5], 2, v[4:5]
	v_add_co_u32_e32 v8, vcc, v8, v4
	v_addc_co_u32_e32 v9, vcc, v9, v5, vcc
	v_lshlrev_b64 v[4:5], 2, v[6:7]
	v_add_co_u32_e32 v4, vcc, v8, v4
	v_addc_co_u32_e32 v5, vcc, v9, v5, vcc
	global_load_dword v4, v[4:5], off
	v_mov_b32_e32 v5, s2
	s_mul_i32 s30, s30, s2
	v_mad_u64_u32 v[2:3], s[0:1], s9, v5, v[2:3]
	v_add_u32_e32 v3, s30, v3
	v_mul_lo_u32 v5, v3, s6
	v_mul_lo_u32 v6, v2, s3
	v_mad_u64_u32 v[2:3], s[0:1], v2, s6, 0
	v_add3_u32 v3, v3, v6, v5
	v_lshlrev_b64 v[2:3], 2, v[2:3]
	v_mov_b32_e32 v5, s15
	v_add_co_u32_e32 v2, vcc, s14, v2
	v_addc_co_u32_e32 v3, vcc, v5, v3, vcc
	v_lshlrev_b64 v[0:1], 2, v[0:1]
	v_add_co_u32_e32 v0, vcc, v2, v0
	v_addc_co_u32_e32 v1, vcc, v3, v1, vcc
	s_waitcnt vmcnt(0)
	global_store_dword v[0:1], v4, off
.LBB2_5:
	s_endpgm
.LBB2_6:
                                        ; implicit-def: $vgpr2_vgpr3
	s_branch .LBB2_3
	.section	.rodata,"a",@progbits
	.p2align	6, 0x0
	.amdhsa_kernel _ZN2at6native12_GLOBAL__N_127reflection_pad2d_out_kernelIiEEvPKT_PS3_lliiiiiii
		.amdhsa_group_segment_fixed_size 0
		.amdhsa_private_segment_fixed_size 0
		.amdhsa_kernarg_size 320
		.amdhsa_user_sgpr_count 6
		.amdhsa_user_sgpr_private_segment_buffer 1
		.amdhsa_user_sgpr_dispatch_ptr 0
		.amdhsa_user_sgpr_queue_ptr 0
		.amdhsa_user_sgpr_kernarg_segment_ptr 1
		.amdhsa_user_sgpr_dispatch_id 0
		.amdhsa_user_sgpr_flat_scratch_init 0
		.amdhsa_user_sgpr_kernarg_preload_length 0
		.amdhsa_user_sgpr_kernarg_preload_offset 0
		.amdhsa_user_sgpr_private_segment_size 0
		.amdhsa_uses_dynamic_stack 0
		.amdhsa_system_sgpr_private_segment_wavefront_offset 0
		.amdhsa_system_sgpr_workgroup_id_x 1
		.amdhsa_system_sgpr_workgroup_id_y 1
		.amdhsa_system_sgpr_workgroup_id_z 1
		.amdhsa_system_sgpr_workgroup_info 0
		.amdhsa_system_vgpr_workitem_id 0
		.amdhsa_next_free_vgpr 13
		.amdhsa_next_free_sgpr 36
		.amdhsa_accum_offset 16
		.amdhsa_reserve_vcc 1
		.amdhsa_reserve_flat_scratch 0
		.amdhsa_float_round_mode_32 0
		.amdhsa_float_round_mode_16_64 0
		.amdhsa_float_denorm_mode_32 3
		.amdhsa_float_denorm_mode_16_64 3
		.amdhsa_dx10_clamp 1
		.amdhsa_ieee_mode 1
		.amdhsa_fp16_overflow 0
		.amdhsa_tg_split 0
		.amdhsa_exception_fp_ieee_invalid_op 0
		.amdhsa_exception_fp_denorm_src 0
		.amdhsa_exception_fp_ieee_div_zero 0
		.amdhsa_exception_fp_ieee_overflow 0
		.amdhsa_exception_fp_ieee_underflow 0
		.amdhsa_exception_fp_ieee_inexact 0
		.amdhsa_exception_int_div_zero 0
	.end_amdhsa_kernel
	.section	.text._ZN2at6native12_GLOBAL__N_127reflection_pad2d_out_kernelIiEEvPKT_PS3_lliiiiiii,"axG",@progbits,_ZN2at6native12_GLOBAL__N_127reflection_pad2d_out_kernelIiEEvPKT_PS3_lliiiiiii,comdat
.Lfunc_end2:
	.size	_ZN2at6native12_GLOBAL__N_127reflection_pad2d_out_kernelIiEEvPKT_PS3_lliiiiiii, .Lfunc_end2-_ZN2at6native12_GLOBAL__N_127reflection_pad2d_out_kernelIiEEvPKT_PS3_lliiiiiii
                                        ; -- End function
	.section	.AMDGPU.csdata,"",@progbits
; Kernel info:
; codeLenInByte = 1572
; NumSgprs: 40
; NumVgprs: 13
; NumAgprs: 0
; TotalNumVgprs: 13
; ScratchSize: 0
; MemoryBound: 0
; FloatMode: 240
; IeeeMode: 1
; LDSByteSize: 0 bytes/workgroup (compile time only)
; SGPRBlocks: 4
; VGPRBlocks: 1
; NumSGPRsForWavesPerEU: 40
; NumVGPRsForWavesPerEU: 13
; AccumOffset: 16
; Occupancy: 8
; WaveLimiterHint : 0
; COMPUTE_PGM_RSRC2:SCRATCH_EN: 0
; COMPUTE_PGM_RSRC2:USER_SGPR: 6
; COMPUTE_PGM_RSRC2:TRAP_HANDLER: 0
; COMPUTE_PGM_RSRC2:TGID_X_EN: 1
; COMPUTE_PGM_RSRC2:TGID_Y_EN: 1
; COMPUTE_PGM_RSRC2:TGID_Z_EN: 1
; COMPUTE_PGM_RSRC2:TIDIG_COMP_CNT: 0
; COMPUTE_PGM_RSRC3_GFX90A:ACCUM_OFFSET: 3
; COMPUTE_PGM_RSRC3_GFX90A:TG_SPLIT: 0
	.section	.text._ZN2at6native12_GLOBAL__N_127reflection_pad2d_out_kernelIlEEvPKT_PS3_lliiiiiii,"axG",@progbits,_ZN2at6native12_GLOBAL__N_127reflection_pad2d_out_kernelIlEEvPKT_PS3_lliiiiiii,comdat
	.globl	_ZN2at6native12_GLOBAL__N_127reflection_pad2d_out_kernelIlEEvPKT_PS3_lliiiiiii ; -- Begin function _ZN2at6native12_GLOBAL__N_127reflection_pad2d_out_kernelIlEEvPKT_PS3_lliiiiiii
	.p2align	8
	.type	_ZN2at6native12_GLOBAL__N_127reflection_pad2d_out_kernelIlEEvPKT_PS3_lliiiiiii,@function
_ZN2at6native12_GLOBAL__N_127reflection_pad2d_out_kernelIlEEvPKT_PS3_lliiiiiii: ; @_ZN2at6native12_GLOBAL__N_127reflection_pad2d_out_kernelIlEEvPKT_PS3_lliiiiiii
; %bb.0:
	s_load_dword s9, s[4:5], 0x4c
	s_load_dwordx4 s[0:3], s[4:5], 0x20
	s_load_dwordx8 s[12:19], s[4:5], 0x0
	v_mov_b32_e32 v1, 0
	s_waitcnt lgkmcnt(0)
	s_and_b32 s9, s9, 0xffff
	s_ashr_i32 s11, s2, 31
	s_add_u32 s31, s2, s16
	s_mul_i32 s6, s6, s9
	s_mov_b32 s10, s2
	s_addc_u32 s33, s11, s17
	s_ashr_i32 s2, s3, 31
	v_add_u32_e32 v0, s6, v0
	s_add_u32 s6, s31, s3
	s_addc_u32 s3, s33, s2
	s_ashr_i32 s25, s0, 31
	s_add_u32 s34, s0, s18
	s_mov_b32 s24, s0
	s_addc_u32 s35, s25, s19
	s_ashr_i32 s0, s1, 31
	s_add_u32 s9, s34, s1
	s_addc_u32 s30, s35, s0
	s_mul_i32 s0, s6, s30
	s_mul_hi_u32 s1, s6, s9
	s_add_i32 s0, s1, s0
	s_mul_i32 s1, s3, s9
	s_add_i32 s1, s0, s1
	s_mul_i32 s0, s6, s9
	v_cmp_gt_i64_e32 vcc, s[0:1], v[0:1]
	s_and_saveexec_b64 s[0:1], vcc
	s_cbranch_execz .LBB3_5
; %bb.1:
	s_load_dwordx4 s[20:23], s[4:5], 0x30
	s_mov_b32 s2, 0
	s_cmp_lg_u64 s[2:3], 0
	s_cbranch_scc0 .LBB3_6
; %bb.2:
	s_ashr_i32 s26, s3, 31
	s_add_u32 s0, s6, s26
	s_mov_b32 s27, s26
	s_addc_u32 s1, s3, s26
	s_xor_b64 s[28:29], s[0:1], s[26:27]
	v_cvt_f32_u32_e32 v1, s28
	v_cvt_f32_u32_e32 v2, s29
	s_sub_u32 s0, 0, s28
	s_subb_u32 s1, 0, s29
	v_madmk_f32 v1, v2, 0x4f800000, v1
	v_rcp_f32_e32 v1, v1
	v_mul_f32_e32 v1, 0x5f7ffffc, v1
	v_mul_f32_e32 v2, 0x2f800000, v1
	v_trunc_f32_e32 v2, v2
	v_madmk_f32 v1, v2, 0xcf800000, v1
	v_cvt_u32_f32_e32 v2, v2
	v_cvt_u32_f32_e32 v1, v1
	v_mul_lo_u32 v3, s0, v2
	v_mul_hi_u32 v5, s0, v1
	v_mul_lo_u32 v4, s1, v1
	v_add_u32_e32 v3, v5, v3
	v_add_u32_e32 v3, v3, v4
	v_mul_lo_u32 v6, s0, v1
	v_mul_lo_u32 v5, v1, v3
	v_mul_hi_u32 v7, v1, v6
	v_mul_hi_u32 v4, v1, v3
	v_add_co_u32_e32 v5, vcc, v7, v5
	v_addc_co_u32_e32 v4, vcc, 0, v4, vcc
	v_mul_hi_u32 v8, v2, v6
	v_mul_lo_u32 v6, v2, v6
	v_add_co_u32_e32 v5, vcc, v5, v6
	v_mul_hi_u32 v7, v2, v3
	v_addc_co_u32_e32 v4, vcc, v4, v8, vcc
	v_addc_co_u32_e32 v5, vcc, 0, v7, vcc
	v_mul_lo_u32 v3, v2, v3
	v_add_co_u32_e32 v3, vcc, v4, v3
	v_addc_co_u32_e32 v4, vcc, 0, v5, vcc
	v_add_co_u32_e32 v1, vcc, v1, v3
	v_addc_co_u32_e32 v2, vcc, v2, v4, vcc
	v_mul_lo_u32 v3, s0, v2
	v_mul_hi_u32 v4, s0, v1
	v_add_u32_e32 v3, v4, v3
	v_mul_lo_u32 v4, s1, v1
	v_add_u32_e32 v3, v3, v4
	v_mul_lo_u32 v5, s0, v1
	v_mul_hi_u32 v6, v2, v5
	v_mul_lo_u32 v7, v2, v5
	v_mul_lo_u32 v9, v1, v3
	v_mul_hi_u32 v5, v1, v5
	v_mul_hi_u32 v8, v1, v3
	v_add_co_u32_e32 v5, vcc, v5, v9
	v_addc_co_u32_e32 v8, vcc, 0, v8, vcc
	v_add_co_u32_e32 v5, vcc, v5, v7
	v_mul_hi_u32 v4, v2, v3
	v_addc_co_u32_e32 v5, vcc, v8, v6, vcc
	v_addc_co_u32_e32 v4, vcc, 0, v4, vcc
	v_mul_lo_u32 v3, v2, v3
	v_add_co_u32_e32 v3, vcc, v5, v3
	v_addc_co_u32_e32 v4, vcc, 0, v4, vcc
	v_add_co_u32_e32 v1, vcc, v1, v3
	v_addc_co_u32_e32 v4, vcc, v2, v4, vcc
	v_ashrrev_i32_e64 v6, 31, 0
	v_add_co_u32_e32 v2, vcc, v0, v6
	v_addc_co_u32_e32 v3, vcc, 0, v6, vcc
	v_xor_b32_e32 v8, v2, v6
	v_xor_b32_e32 v7, v3, v6
	v_mad_u64_u32 v[2:3], s[0:1], v8, v4, 0
	v_mul_hi_u32 v5, v8, v1
	v_add_co_u32_e32 v9, vcc, v5, v2
	v_addc_co_u32_e32 v10, vcc, 0, v3, vcc
	v_mad_u64_u32 v[2:3], s[0:1], v7, v4, 0
	v_mad_u64_u32 v[4:5], s[0:1], v7, v1, 0
	v_add_co_u32_e32 v1, vcc, v9, v4
	v_addc_co_u32_e32 v1, vcc, v10, v5, vcc
	v_addc_co_u32_e32 v3, vcc, 0, v3, vcc
	v_add_co_u32_e32 v1, vcc, v1, v2
	v_addc_co_u32_e32 v4, vcc, 0, v3, vcc
	v_mul_lo_u32 v5, s29, v1
	v_mul_lo_u32 v9, s28, v4
	v_mad_u64_u32 v[2:3], s[0:1], s28, v1, 0
	v_add3_u32 v3, v3, v9, v5
	v_sub_u32_e32 v5, v7, v3
	v_mov_b32_e32 v9, s29
	v_sub_co_u32_e32 v2, vcc, v8, v2
	v_subb_co_u32_e64 v5, s[0:1], v5, v9, vcc
	v_subrev_co_u32_e64 v8, s[0:1], s28, v2
	v_subbrev_co_u32_e64 v5, s[0:1], 0, v5, s[0:1]
	v_cmp_le_u32_e64 s[0:1], s29, v5
	v_cndmask_b32_e64 v9, 0, -1, s[0:1]
	v_cmp_le_u32_e64 s[0:1], s28, v8
	v_cndmask_b32_e64 v8, 0, -1, s[0:1]
	v_cmp_eq_u32_e64 s[0:1], s29, v5
	v_cndmask_b32_e64 v5, v9, v8, s[0:1]
	v_add_co_u32_e64 v8, s[0:1], 2, v1
	v_subb_co_u32_e32 v3, vcc, v7, v3, vcc
	v_addc_co_u32_e64 v9, s[0:1], 0, v4, s[0:1]
	v_cmp_le_u32_e32 vcc, s29, v3
	v_add_co_u32_e64 v10, s[0:1], 1, v1
	v_cndmask_b32_e64 v7, 0, -1, vcc
	v_cmp_le_u32_e32 vcc, s28, v2
	v_addc_co_u32_e64 v11, s[0:1], 0, v4, s[0:1]
	v_cndmask_b32_e64 v2, 0, -1, vcc
	v_cmp_eq_u32_e32 vcc, s29, v3
	v_cmp_ne_u32_e64 s[0:1], 0, v5
	v_cndmask_b32_e32 v2, v7, v2, vcc
	v_cmp_ne_u32_e32 vcc, 0, v2
	v_cndmask_b32_e64 v3, v10, v8, s[0:1]
	v_cndmask_b32_e64 v5, v11, v9, s[0:1]
	v_cndmask_b32_e32 v1, v1, v3, vcc
	v_xor_b32_e32 v3, s26, v6
	v_cndmask_b32_e32 v2, v4, v5, vcc
	v_xor_b32_e32 v1, v1, v3
	v_xor_b32_e32 v4, v2, v3
	v_sub_co_u32_e32 v2, vcc, v1, v3
	v_subb_co_u32_e32 v3, vcc, v4, v3, vcc
	s_cbranch_execnz .LBB3_4
.LBB3_3:
	v_cvt_f32_u32_e32 v1, s6
	s_sub_i32 s0, 0, s6
	v_rcp_iflag_f32_e32 v1, v1
	v_mul_f32_e32 v1, 0x4f7ffffe, v1
	v_cvt_u32_f32_e32 v1, v1
	v_mul_lo_u32 v2, s0, v1
	v_mul_hi_u32 v2, v1, v2
	v_add_u32_e32 v1, v1, v2
	v_mul_hi_u32 v1, v0, v1
	v_mul_lo_u32 v2, v1, s6
	v_sub_u32_e32 v2, v0, v2
	v_add_u32_e32 v3, 1, v1
	v_subrev_u32_e32 v4, s6, v2
	v_cmp_le_u32_e32 vcc, s6, v2
	v_cndmask_b32_e32 v2, v2, v4, vcc
	v_cndmask_b32_e32 v1, v1, v3, vcc
	v_add_u32_e32 v3, 1, v1
	v_cmp_le_u32_e32 vcc, s6, v2
	v_cndmask_b32_e32 v2, v1, v3, vcc
	v_mov_b32_e32 v3, 0
.LBB3_4:
	s_sub_u32 s0, 0, s24
	s_subb_u32 s1, 0, s25
	s_sub_u32 s4, 0, s10
	s_subb_u32 s5, 0, s11
	s_waitcnt lgkmcnt(0)
	s_add_i32 s2, s7, s20
	s_add_i32 s7, s8, s21
	s_mul_i32 s7, s7, s22
	s_add_i32 s2, s2, s7
	s_mul_i32 s7, s2, s19
	s_mul_hi_u32 s8, s2, s18
	s_add_i32 s8, s8, s7
	s_mul_i32 s7, s2, s18
	v_mul_lo_u32 v1, v3, s6
	v_mul_lo_u32 v6, v2, s3
	v_mad_u64_u32 v[4:5], s[18:19], v2, s6, 0
	v_add3_u32 v1, v5, v6, v1
	v_sub_co_u32_e32 v0, vcc, v0, v4
	v_subb_co_u32_e32 v1, vcc, 0, v1, vcc
	v_mov_b32_e32 v5, s11
	v_subrev_co_u32_e32 v4, vcc, s10, v0
	v_subb_co_u32_e32 v5, vcc, v1, v5, vcc
	v_ashrrev_i32_e32 v6, 31, v5
	v_xor_b32_e32 v4, v4, v6
	v_xor_b32_e32 v5, v5, v6
	v_sub_co_u32_e32 v4, vcc, v4, v6
	v_subb_co_u32_e32 v5, vcc, v5, v6, vcc
	v_mov_b32_e32 v6, s33
	v_subrev_co_u32_e32 v7, vcc, s31, v0
	v_subb_co_u32_e32 v6, vcc, v1, v6, vcc
	v_add_co_u32_e32 v7, vcc, 1, v7
	v_addc_co_u32_e32 v6, vcc, 0, v6, vcc
	v_ashrrev_i32_e32 v8, 31, v6
	v_xor_b32_e32 v7, v7, v8
	v_xor_b32_e32 v6, v6, v8
	v_sub_co_u32_e32 v9, vcc, v7, v8
	v_cmp_gt_i64_e64 s[18:19], s[4:5], 0
	v_subb_co_u32_e32 v8, vcc, v6, v8, vcc
	s_and_b64 s[18:19], s[18:19], exec
	v_mov_b32_e32 v6, s25
	v_subrev_co_u32_e32 v7, vcc, s24, v2
	s_cselect_b32 s18, s5, 0
	s_cselect_b32 s19, s4, 0
	v_cmp_gt_i64_e64 s[4:5], s[0:1], 0
	v_subb_co_u32_e32 v6, vcc, v3, v6, vcc
	s_and_b64 s[4:5], s[4:5], exec
	v_ashrrev_i32_e32 v10, 31, v6
	s_cselect_b32 s20, s1, 0
	s_cselect_b32 s21, s0, 0
	v_cmp_gt_i64_e64 s[0:1], s[10:11], 0
	v_xor_b32_e32 v7, v7, v10
	s_and_b64 s[0:1], s[0:1], exec
	v_cmp_gt_i64_e64 s[4:5], s[24:25], 0
	v_xor_b32_e32 v6, v6, v10
	v_sub_co_u32_e32 v7, vcc, v7, v10
	s_cselect_b32 s1, s11, 0
	s_cselect_b32 s0, s10, 0
	s_and_b64 s[4:5], s[4:5], exec
	v_subb_co_u32_e32 v6, vcc, v6, v10, vcc
	s_cselect_b32 s5, s25, 0
	s_cselect_b32 s4, s24, 0
	v_mov_b32_e32 v10, s35
	v_subrev_co_u32_e32 v11, vcc, s34, v2
	s_not_b64 s[0:1], s[0:1]
	v_subb_co_u32_e32 v10, vcc, v3, v10, vcc
	s_not_b64 s[4:5], s[4:5]
	v_add_co_u32_e32 v11, vcc, 1, v11
	s_add_u32 s22, s34, s24
	v_addc_co_u32_e32 v10, vcc, 0, v10, vcc
	s_addc_u32 s23, s35, s25
	v_ashrrev_i32_e32 v12, 31, v10
	s_add_u32 s4, s22, s4
	v_xor_b32_e32 v11, v11, v12
	s_addc_u32 s5, s23, s5
	v_xor_b32_e32 v10, v10, v12
	v_sub_co_u32_e32 v11, vcc, v11, v12
	s_add_u32 s4, s4, s21
	v_subb_co_u32_e32 v10, vcc, v10, v12, vcc
	s_addc_u32 s5, s5, s20
	s_add_u32 s4, s4, s7
	v_add_co_u32_e32 v11, vcc, v2, v11
	s_addc_u32 s5, s5, s8
	v_addc_co_u32_e32 v10, vcc, v3, v10, vcc
	v_mov_b32_e32 v12, s5
	v_sub_co_u32_e32 v11, vcc, s4, v11
	v_subb_co_u32_e32 v10, vcc, v12, v10, vcc
	v_add_co_u32_e32 v7, vcc, v11, v7
	v_addc_co_u32_e32 v6, vcc, v10, v6, vcc
	v_mul_lo_u32 v10, v6, s16
	v_mul_lo_u32 v11, v7, s17
	v_mad_u64_u32 v[6:7], s[4:5], v7, s16, 0
	s_add_u32 s4, s31, s10
	s_addc_u32 s5, s33, s11
	s_add_u32 s0, s4, s0
	s_addc_u32 s1, s5, s1
	s_add_u32 s0, s0, s19
	v_add_co_u32_e32 v9, vcc, v0, v9
	v_add3_u32 v7, v7, v11, v10
	s_addc_u32 s1, s1, s18
	v_addc_co_u32_e32 v10, vcc, v1, v8, vcc
	v_mov_b32_e32 v11, s1
	v_sub_co_u32_e32 v8, vcc, s0, v9
	v_subb_co_u32_e32 v9, vcc, v11, v10, vcc
	v_lshlrev_b64 v[8:9], 3, v[8:9]
	v_mov_b32_e32 v10, s13
	v_add_co_u32_e32 v8, vcc, s12, v8
	v_addc_co_u32_e32 v9, vcc, v10, v9, vcc
	v_lshlrev_b64 v[4:5], 3, v[4:5]
	v_add_co_u32_e32 v8, vcc, v8, v4
	v_addc_co_u32_e32 v9, vcc, v9, v5, vcc
	v_lshlrev_b64 v[4:5], 3, v[6:7]
	v_add_co_u32_e32 v4, vcc, v8, v4
	v_addc_co_u32_e32 v5, vcc, v9, v5, vcc
	global_load_dwordx2 v[4:5], v[4:5], off
	v_mov_b32_e32 v6, s2
	s_mul_i32 s30, s30, s2
	v_mad_u64_u32 v[2:3], s[0:1], s9, v6, v[2:3]
	v_add_u32_e32 v3, s30, v3
	v_mul_lo_u32 v6, v3, s6
	v_mul_lo_u32 v7, v2, s3
	v_mad_u64_u32 v[2:3], s[0:1], v2, s6, 0
	v_add3_u32 v3, v3, v7, v6
	v_lshlrev_b64 v[2:3], 3, v[2:3]
	v_mov_b32_e32 v6, s15
	v_add_co_u32_e32 v2, vcc, s14, v2
	v_addc_co_u32_e32 v3, vcc, v6, v3, vcc
	v_lshlrev_b64 v[0:1], 3, v[0:1]
	v_add_co_u32_e32 v0, vcc, v2, v0
	v_addc_co_u32_e32 v1, vcc, v3, v1, vcc
	s_waitcnt vmcnt(0)
	global_store_dwordx2 v[0:1], v[4:5], off
.LBB3_5:
	s_endpgm
.LBB3_6:
                                        ; implicit-def: $vgpr2_vgpr3
	s_branch .LBB3_3
	.section	.rodata,"a",@progbits
	.p2align	6, 0x0
	.amdhsa_kernel _ZN2at6native12_GLOBAL__N_127reflection_pad2d_out_kernelIlEEvPKT_PS3_lliiiiiii
		.amdhsa_group_segment_fixed_size 0
		.amdhsa_private_segment_fixed_size 0
		.amdhsa_kernarg_size 320
		.amdhsa_user_sgpr_count 6
		.amdhsa_user_sgpr_private_segment_buffer 1
		.amdhsa_user_sgpr_dispatch_ptr 0
		.amdhsa_user_sgpr_queue_ptr 0
		.amdhsa_user_sgpr_kernarg_segment_ptr 1
		.amdhsa_user_sgpr_dispatch_id 0
		.amdhsa_user_sgpr_flat_scratch_init 0
		.amdhsa_user_sgpr_kernarg_preload_length 0
		.amdhsa_user_sgpr_kernarg_preload_offset 0
		.amdhsa_user_sgpr_private_segment_size 0
		.amdhsa_uses_dynamic_stack 0
		.amdhsa_system_sgpr_private_segment_wavefront_offset 0
		.amdhsa_system_sgpr_workgroup_id_x 1
		.amdhsa_system_sgpr_workgroup_id_y 1
		.amdhsa_system_sgpr_workgroup_id_z 1
		.amdhsa_system_sgpr_workgroup_info 0
		.amdhsa_system_vgpr_workitem_id 0
		.amdhsa_next_free_vgpr 13
		.amdhsa_next_free_sgpr 36
		.amdhsa_accum_offset 16
		.amdhsa_reserve_vcc 1
		.amdhsa_reserve_flat_scratch 0
		.amdhsa_float_round_mode_32 0
		.amdhsa_float_round_mode_16_64 0
		.amdhsa_float_denorm_mode_32 3
		.amdhsa_float_denorm_mode_16_64 3
		.amdhsa_dx10_clamp 1
		.amdhsa_ieee_mode 1
		.amdhsa_fp16_overflow 0
		.amdhsa_tg_split 0
		.amdhsa_exception_fp_ieee_invalid_op 0
		.amdhsa_exception_fp_denorm_src 0
		.amdhsa_exception_fp_ieee_div_zero 0
		.amdhsa_exception_fp_ieee_overflow 0
		.amdhsa_exception_fp_ieee_underflow 0
		.amdhsa_exception_fp_ieee_inexact 0
		.amdhsa_exception_int_div_zero 0
	.end_amdhsa_kernel
	.section	.text._ZN2at6native12_GLOBAL__N_127reflection_pad2d_out_kernelIlEEvPKT_PS3_lliiiiiii,"axG",@progbits,_ZN2at6native12_GLOBAL__N_127reflection_pad2d_out_kernelIlEEvPKT_PS3_lliiiiiii,comdat
.Lfunc_end3:
	.size	_ZN2at6native12_GLOBAL__N_127reflection_pad2d_out_kernelIlEEvPKT_PS3_lliiiiiii, .Lfunc_end3-_ZN2at6native12_GLOBAL__N_127reflection_pad2d_out_kernelIlEEvPKT_PS3_lliiiiiii
                                        ; -- End function
	.section	.AMDGPU.csdata,"",@progbits
; Kernel info:
; codeLenInByte = 1572
; NumSgprs: 40
; NumVgprs: 13
; NumAgprs: 0
; TotalNumVgprs: 13
; ScratchSize: 0
; MemoryBound: 0
; FloatMode: 240
; IeeeMode: 1
; LDSByteSize: 0 bytes/workgroup (compile time only)
; SGPRBlocks: 4
; VGPRBlocks: 1
; NumSGPRsForWavesPerEU: 40
; NumVGPRsForWavesPerEU: 13
; AccumOffset: 16
; Occupancy: 8
; WaveLimiterHint : 0
; COMPUTE_PGM_RSRC2:SCRATCH_EN: 0
; COMPUTE_PGM_RSRC2:USER_SGPR: 6
; COMPUTE_PGM_RSRC2:TRAP_HANDLER: 0
; COMPUTE_PGM_RSRC2:TGID_X_EN: 1
; COMPUTE_PGM_RSRC2:TGID_Y_EN: 1
; COMPUTE_PGM_RSRC2:TGID_Z_EN: 1
; COMPUTE_PGM_RSRC2:TIDIG_COMP_CNT: 0
; COMPUTE_PGM_RSRC3_GFX90A:ACCUM_OFFSET: 3
; COMPUTE_PGM_RSRC3_GFX90A:TG_SPLIT: 0
	.section	.text._ZN2at6native12_GLOBAL__N_127reflection_pad2d_out_kernelIsEEvPKT_PS3_lliiiiiii,"axG",@progbits,_ZN2at6native12_GLOBAL__N_127reflection_pad2d_out_kernelIsEEvPKT_PS3_lliiiiiii,comdat
	.globl	_ZN2at6native12_GLOBAL__N_127reflection_pad2d_out_kernelIsEEvPKT_PS3_lliiiiiii ; -- Begin function _ZN2at6native12_GLOBAL__N_127reflection_pad2d_out_kernelIsEEvPKT_PS3_lliiiiiii
	.p2align	8
	.type	_ZN2at6native12_GLOBAL__N_127reflection_pad2d_out_kernelIsEEvPKT_PS3_lliiiiiii,@function
_ZN2at6native12_GLOBAL__N_127reflection_pad2d_out_kernelIsEEvPKT_PS3_lliiiiiii: ; @_ZN2at6native12_GLOBAL__N_127reflection_pad2d_out_kernelIsEEvPKT_PS3_lliiiiiii
; %bb.0:
	s_load_dword s9, s[4:5], 0x4c
	s_load_dwordx4 s[0:3], s[4:5], 0x20
	s_load_dwordx8 s[12:19], s[4:5], 0x0
	v_mov_b32_e32 v1, 0
	s_waitcnt lgkmcnt(0)
	s_and_b32 s9, s9, 0xffff
	s_ashr_i32 s11, s2, 31
	s_add_u32 s31, s2, s16
	s_mul_i32 s6, s6, s9
	s_mov_b32 s10, s2
	s_addc_u32 s33, s11, s17
	s_ashr_i32 s2, s3, 31
	v_add_u32_e32 v0, s6, v0
	s_add_u32 s6, s31, s3
	s_addc_u32 s3, s33, s2
	s_ashr_i32 s25, s0, 31
	s_add_u32 s34, s0, s18
	s_mov_b32 s24, s0
	s_addc_u32 s35, s25, s19
	s_ashr_i32 s0, s1, 31
	s_add_u32 s9, s34, s1
	s_addc_u32 s30, s35, s0
	s_mul_i32 s0, s6, s30
	s_mul_hi_u32 s1, s6, s9
	s_add_i32 s0, s1, s0
	s_mul_i32 s1, s3, s9
	s_add_i32 s1, s0, s1
	s_mul_i32 s0, s6, s9
	v_cmp_gt_i64_e32 vcc, s[0:1], v[0:1]
	s_and_saveexec_b64 s[0:1], vcc
	s_cbranch_execz .LBB4_5
; %bb.1:
	s_load_dwordx4 s[20:23], s[4:5], 0x30
	s_mov_b32 s2, 0
	s_cmp_lg_u64 s[2:3], 0
	s_cbranch_scc0 .LBB4_6
; %bb.2:
	s_ashr_i32 s26, s3, 31
	s_add_u32 s0, s6, s26
	s_mov_b32 s27, s26
	s_addc_u32 s1, s3, s26
	s_xor_b64 s[28:29], s[0:1], s[26:27]
	v_cvt_f32_u32_e32 v1, s28
	v_cvt_f32_u32_e32 v2, s29
	s_sub_u32 s0, 0, s28
	s_subb_u32 s1, 0, s29
	v_madmk_f32 v1, v2, 0x4f800000, v1
	v_rcp_f32_e32 v1, v1
	v_mul_f32_e32 v1, 0x5f7ffffc, v1
	v_mul_f32_e32 v2, 0x2f800000, v1
	v_trunc_f32_e32 v2, v2
	v_madmk_f32 v1, v2, 0xcf800000, v1
	v_cvt_u32_f32_e32 v2, v2
	v_cvt_u32_f32_e32 v1, v1
	v_mul_lo_u32 v3, s0, v2
	v_mul_hi_u32 v5, s0, v1
	v_mul_lo_u32 v4, s1, v1
	v_add_u32_e32 v3, v5, v3
	v_add_u32_e32 v3, v3, v4
	v_mul_lo_u32 v6, s0, v1
	v_mul_lo_u32 v5, v1, v3
	v_mul_hi_u32 v7, v1, v6
	v_mul_hi_u32 v4, v1, v3
	v_add_co_u32_e32 v5, vcc, v7, v5
	v_addc_co_u32_e32 v4, vcc, 0, v4, vcc
	v_mul_hi_u32 v8, v2, v6
	v_mul_lo_u32 v6, v2, v6
	v_add_co_u32_e32 v5, vcc, v5, v6
	v_mul_hi_u32 v7, v2, v3
	v_addc_co_u32_e32 v4, vcc, v4, v8, vcc
	v_addc_co_u32_e32 v5, vcc, 0, v7, vcc
	v_mul_lo_u32 v3, v2, v3
	v_add_co_u32_e32 v3, vcc, v4, v3
	v_addc_co_u32_e32 v4, vcc, 0, v5, vcc
	v_add_co_u32_e32 v1, vcc, v1, v3
	v_addc_co_u32_e32 v2, vcc, v2, v4, vcc
	v_mul_lo_u32 v3, s0, v2
	v_mul_hi_u32 v4, s0, v1
	v_add_u32_e32 v3, v4, v3
	v_mul_lo_u32 v4, s1, v1
	v_add_u32_e32 v3, v3, v4
	v_mul_lo_u32 v5, s0, v1
	v_mul_hi_u32 v6, v2, v5
	v_mul_lo_u32 v7, v2, v5
	v_mul_lo_u32 v9, v1, v3
	v_mul_hi_u32 v5, v1, v5
	v_mul_hi_u32 v8, v1, v3
	v_add_co_u32_e32 v5, vcc, v5, v9
	v_addc_co_u32_e32 v8, vcc, 0, v8, vcc
	v_add_co_u32_e32 v5, vcc, v5, v7
	v_mul_hi_u32 v4, v2, v3
	v_addc_co_u32_e32 v5, vcc, v8, v6, vcc
	v_addc_co_u32_e32 v4, vcc, 0, v4, vcc
	v_mul_lo_u32 v3, v2, v3
	v_add_co_u32_e32 v3, vcc, v5, v3
	v_addc_co_u32_e32 v4, vcc, 0, v4, vcc
	v_add_co_u32_e32 v1, vcc, v1, v3
	v_addc_co_u32_e32 v4, vcc, v2, v4, vcc
	v_ashrrev_i32_e64 v6, 31, 0
	v_add_co_u32_e32 v2, vcc, v0, v6
	v_addc_co_u32_e32 v3, vcc, 0, v6, vcc
	v_xor_b32_e32 v8, v2, v6
	v_xor_b32_e32 v7, v3, v6
	v_mad_u64_u32 v[2:3], s[0:1], v8, v4, 0
	v_mul_hi_u32 v5, v8, v1
	v_add_co_u32_e32 v9, vcc, v5, v2
	v_addc_co_u32_e32 v10, vcc, 0, v3, vcc
	v_mad_u64_u32 v[2:3], s[0:1], v7, v4, 0
	v_mad_u64_u32 v[4:5], s[0:1], v7, v1, 0
	v_add_co_u32_e32 v1, vcc, v9, v4
	v_addc_co_u32_e32 v1, vcc, v10, v5, vcc
	v_addc_co_u32_e32 v3, vcc, 0, v3, vcc
	v_add_co_u32_e32 v1, vcc, v1, v2
	v_addc_co_u32_e32 v4, vcc, 0, v3, vcc
	v_mul_lo_u32 v5, s29, v1
	v_mul_lo_u32 v9, s28, v4
	v_mad_u64_u32 v[2:3], s[0:1], s28, v1, 0
	v_add3_u32 v3, v3, v9, v5
	v_sub_u32_e32 v5, v7, v3
	v_mov_b32_e32 v9, s29
	v_sub_co_u32_e32 v2, vcc, v8, v2
	v_subb_co_u32_e64 v5, s[0:1], v5, v9, vcc
	v_subrev_co_u32_e64 v8, s[0:1], s28, v2
	v_subbrev_co_u32_e64 v5, s[0:1], 0, v5, s[0:1]
	v_cmp_le_u32_e64 s[0:1], s29, v5
	v_cndmask_b32_e64 v9, 0, -1, s[0:1]
	v_cmp_le_u32_e64 s[0:1], s28, v8
	v_cndmask_b32_e64 v8, 0, -1, s[0:1]
	v_cmp_eq_u32_e64 s[0:1], s29, v5
	v_cndmask_b32_e64 v5, v9, v8, s[0:1]
	v_add_co_u32_e64 v8, s[0:1], 2, v1
	v_subb_co_u32_e32 v3, vcc, v7, v3, vcc
	v_addc_co_u32_e64 v9, s[0:1], 0, v4, s[0:1]
	v_cmp_le_u32_e32 vcc, s29, v3
	v_add_co_u32_e64 v10, s[0:1], 1, v1
	v_cndmask_b32_e64 v7, 0, -1, vcc
	v_cmp_le_u32_e32 vcc, s28, v2
	v_addc_co_u32_e64 v11, s[0:1], 0, v4, s[0:1]
	v_cndmask_b32_e64 v2, 0, -1, vcc
	v_cmp_eq_u32_e32 vcc, s29, v3
	v_cmp_ne_u32_e64 s[0:1], 0, v5
	v_cndmask_b32_e32 v2, v7, v2, vcc
	v_cmp_ne_u32_e32 vcc, 0, v2
	v_cndmask_b32_e64 v3, v10, v8, s[0:1]
	v_cndmask_b32_e64 v5, v11, v9, s[0:1]
	v_cndmask_b32_e32 v1, v1, v3, vcc
	v_xor_b32_e32 v3, s26, v6
	v_cndmask_b32_e32 v2, v4, v5, vcc
	v_xor_b32_e32 v1, v1, v3
	v_xor_b32_e32 v4, v2, v3
	v_sub_co_u32_e32 v2, vcc, v1, v3
	v_subb_co_u32_e32 v3, vcc, v4, v3, vcc
	s_cbranch_execnz .LBB4_4
.LBB4_3:
	v_cvt_f32_u32_e32 v1, s6
	s_sub_i32 s0, 0, s6
	v_rcp_iflag_f32_e32 v1, v1
	v_mul_f32_e32 v1, 0x4f7ffffe, v1
	v_cvt_u32_f32_e32 v1, v1
	v_mul_lo_u32 v2, s0, v1
	v_mul_hi_u32 v2, v1, v2
	v_add_u32_e32 v1, v1, v2
	v_mul_hi_u32 v1, v0, v1
	v_mul_lo_u32 v2, v1, s6
	v_sub_u32_e32 v2, v0, v2
	v_add_u32_e32 v3, 1, v1
	v_subrev_u32_e32 v4, s6, v2
	v_cmp_le_u32_e32 vcc, s6, v2
	v_cndmask_b32_e32 v2, v2, v4, vcc
	v_cndmask_b32_e32 v1, v1, v3, vcc
	v_add_u32_e32 v3, 1, v1
	v_cmp_le_u32_e32 vcc, s6, v2
	v_cndmask_b32_e32 v2, v1, v3, vcc
	v_mov_b32_e32 v3, 0
.LBB4_4:
	s_sub_u32 s0, 0, s24
	s_subb_u32 s1, 0, s25
	s_sub_u32 s4, 0, s10
	s_subb_u32 s5, 0, s11
	s_waitcnt lgkmcnt(0)
	s_add_i32 s2, s7, s20
	s_add_i32 s7, s8, s21
	s_mul_i32 s7, s7, s22
	s_add_i32 s2, s2, s7
	s_mul_i32 s7, s2, s19
	s_mul_hi_u32 s8, s2, s18
	s_add_i32 s8, s8, s7
	s_mul_i32 s7, s2, s18
	v_mul_lo_u32 v1, v3, s6
	v_mul_lo_u32 v6, v2, s3
	v_mad_u64_u32 v[4:5], s[18:19], v2, s6, 0
	v_add3_u32 v1, v5, v6, v1
	v_sub_co_u32_e32 v0, vcc, v0, v4
	v_subb_co_u32_e32 v1, vcc, 0, v1, vcc
	v_mov_b32_e32 v5, s11
	v_subrev_co_u32_e32 v4, vcc, s10, v0
	v_subb_co_u32_e32 v5, vcc, v1, v5, vcc
	v_ashrrev_i32_e32 v6, 31, v5
	v_xor_b32_e32 v4, v4, v6
	v_xor_b32_e32 v5, v5, v6
	v_sub_co_u32_e32 v4, vcc, v4, v6
	v_subb_co_u32_e32 v5, vcc, v5, v6, vcc
	v_mov_b32_e32 v6, s33
	v_subrev_co_u32_e32 v7, vcc, s31, v0
	v_subb_co_u32_e32 v6, vcc, v1, v6, vcc
	v_add_co_u32_e32 v7, vcc, 1, v7
	v_addc_co_u32_e32 v6, vcc, 0, v6, vcc
	v_ashrrev_i32_e32 v8, 31, v6
	v_xor_b32_e32 v7, v7, v8
	v_xor_b32_e32 v6, v6, v8
	v_sub_co_u32_e32 v9, vcc, v7, v8
	v_cmp_gt_i64_e64 s[18:19], s[4:5], 0
	v_subb_co_u32_e32 v8, vcc, v6, v8, vcc
	s_and_b64 s[18:19], s[18:19], exec
	v_mov_b32_e32 v6, s25
	v_subrev_co_u32_e32 v7, vcc, s24, v2
	s_cselect_b32 s18, s5, 0
	s_cselect_b32 s19, s4, 0
	v_cmp_gt_i64_e64 s[4:5], s[0:1], 0
	v_subb_co_u32_e32 v6, vcc, v3, v6, vcc
	s_and_b64 s[4:5], s[4:5], exec
	v_ashrrev_i32_e32 v10, 31, v6
	s_cselect_b32 s20, s1, 0
	s_cselect_b32 s21, s0, 0
	v_cmp_gt_i64_e64 s[0:1], s[10:11], 0
	v_xor_b32_e32 v7, v7, v10
	s_and_b64 s[0:1], s[0:1], exec
	v_cmp_gt_i64_e64 s[4:5], s[24:25], 0
	v_xor_b32_e32 v6, v6, v10
	v_sub_co_u32_e32 v7, vcc, v7, v10
	s_cselect_b32 s1, s11, 0
	s_cselect_b32 s0, s10, 0
	s_and_b64 s[4:5], s[4:5], exec
	v_subb_co_u32_e32 v6, vcc, v6, v10, vcc
	s_cselect_b32 s5, s25, 0
	s_cselect_b32 s4, s24, 0
	v_mov_b32_e32 v10, s35
	v_subrev_co_u32_e32 v11, vcc, s34, v2
	s_not_b64 s[0:1], s[0:1]
	v_subb_co_u32_e32 v10, vcc, v3, v10, vcc
	s_not_b64 s[4:5], s[4:5]
	v_add_co_u32_e32 v11, vcc, 1, v11
	s_add_u32 s22, s34, s24
	v_addc_co_u32_e32 v10, vcc, 0, v10, vcc
	s_addc_u32 s23, s35, s25
	v_ashrrev_i32_e32 v12, 31, v10
	s_add_u32 s4, s22, s4
	v_xor_b32_e32 v11, v11, v12
	s_addc_u32 s5, s23, s5
	v_xor_b32_e32 v10, v10, v12
	v_sub_co_u32_e32 v11, vcc, v11, v12
	s_add_u32 s4, s4, s21
	v_subb_co_u32_e32 v10, vcc, v10, v12, vcc
	s_addc_u32 s5, s5, s20
	s_add_u32 s4, s4, s7
	v_add_co_u32_e32 v11, vcc, v2, v11
	s_addc_u32 s5, s5, s8
	v_addc_co_u32_e32 v10, vcc, v3, v10, vcc
	v_mov_b32_e32 v12, s5
	v_sub_co_u32_e32 v11, vcc, s4, v11
	v_subb_co_u32_e32 v10, vcc, v12, v10, vcc
	v_add_co_u32_e32 v7, vcc, v11, v7
	v_addc_co_u32_e32 v6, vcc, v10, v6, vcc
	v_mul_lo_u32 v10, v6, s16
	v_mul_lo_u32 v11, v7, s17
	v_mad_u64_u32 v[6:7], s[4:5], v7, s16, 0
	s_add_u32 s4, s31, s10
	s_addc_u32 s5, s33, s11
	s_add_u32 s0, s4, s0
	s_addc_u32 s1, s5, s1
	s_add_u32 s0, s0, s19
	v_add_co_u32_e32 v9, vcc, v0, v9
	v_add3_u32 v7, v7, v11, v10
	s_addc_u32 s1, s1, s18
	v_addc_co_u32_e32 v10, vcc, v1, v8, vcc
	v_mov_b32_e32 v11, s1
	v_sub_co_u32_e32 v8, vcc, s0, v9
	v_subb_co_u32_e32 v9, vcc, v11, v10, vcc
	v_lshlrev_b64 v[8:9], 1, v[8:9]
	v_mov_b32_e32 v10, s13
	v_add_co_u32_e32 v8, vcc, s12, v8
	v_addc_co_u32_e32 v9, vcc, v10, v9, vcc
	v_lshlrev_b64 v[4:5], 1, v[4:5]
	v_add_co_u32_e32 v8, vcc, v8, v4
	v_addc_co_u32_e32 v9, vcc, v9, v5, vcc
	v_lshlrev_b64 v[4:5], 1, v[6:7]
	v_add_co_u32_e32 v4, vcc, v8, v4
	v_addc_co_u32_e32 v5, vcc, v9, v5, vcc
	global_load_ushort v4, v[4:5], off
	v_mov_b32_e32 v5, s2
	s_mul_i32 s30, s30, s2
	v_mad_u64_u32 v[2:3], s[0:1], s9, v5, v[2:3]
	v_add_u32_e32 v3, s30, v3
	v_mul_lo_u32 v5, v3, s6
	v_mul_lo_u32 v6, v2, s3
	v_mad_u64_u32 v[2:3], s[0:1], v2, s6, 0
	v_add3_u32 v3, v3, v6, v5
	v_lshlrev_b64 v[2:3], 1, v[2:3]
	v_mov_b32_e32 v5, s15
	v_add_co_u32_e32 v2, vcc, s14, v2
	v_addc_co_u32_e32 v3, vcc, v5, v3, vcc
	v_lshlrev_b64 v[0:1], 1, v[0:1]
	v_add_co_u32_e32 v0, vcc, v2, v0
	v_addc_co_u32_e32 v1, vcc, v3, v1, vcc
	s_waitcnt vmcnt(0)
	global_store_short v[0:1], v4, off
.LBB4_5:
	s_endpgm
.LBB4_6:
                                        ; implicit-def: $vgpr2_vgpr3
	s_branch .LBB4_3
	.section	.rodata,"a",@progbits
	.p2align	6, 0x0
	.amdhsa_kernel _ZN2at6native12_GLOBAL__N_127reflection_pad2d_out_kernelIsEEvPKT_PS3_lliiiiiii
		.amdhsa_group_segment_fixed_size 0
		.amdhsa_private_segment_fixed_size 0
		.amdhsa_kernarg_size 320
		.amdhsa_user_sgpr_count 6
		.amdhsa_user_sgpr_private_segment_buffer 1
		.amdhsa_user_sgpr_dispatch_ptr 0
		.amdhsa_user_sgpr_queue_ptr 0
		.amdhsa_user_sgpr_kernarg_segment_ptr 1
		.amdhsa_user_sgpr_dispatch_id 0
		.amdhsa_user_sgpr_flat_scratch_init 0
		.amdhsa_user_sgpr_kernarg_preload_length 0
		.amdhsa_user_sgpr_kernarg_preload_offset 0
		.amdhsa_user_sgpr_private_segment_size 0
		.amdhsa_uses_dynamic_stack 0
		.amdhsa_system_sgpr_private_segment_wavefront_offset 0
		.amdhsa_system_sgpr_workgroup_id_x 1
		.amdhsa_system_sgpr_workgroup_id_y 1
		.amdhsa_system_sgpr_workgroup_id_z 1
		.amdhsa_system_sgpr_workgroup_info 0
		.amdhsa_system_vgpr_workitem_id 0
		.amdhsa_next_free_vgpr 13
		.amdhsa_next_free_sgpr 36
		.amdhsa_accum_offset 16
		.amdhsa_reserve_vcc 1
		.amdhsa_reserve_flat_scratch 0
		.amdhsa_float_round_mode_32 0
		.amdhsa_float_round_mode_16_64 0
		.amdhsa_float_denorm_mode_32 3
		.amdhsa_float_denorm_mode_16_64 3
		.amdhsa_dx10_clamp 1
		.amdhsa_ieee_mode 1
		.amdhsa_fp16_overflow 0
		.amdhsa_tg_split 0
		.amdhsa_exception_fp_ieee_invalid_op 0
		.amdhsa_exception_fp_denorm_src 0
		.amdhsa_exception_fp_ieee_div_zero 0
		.amdhsa_exception_fp_ieee_overflow 0
		.amdhsa_exception_fp_ieee_underflow 0
		.amdhsa_exception_fp_ieee_inexact 0
		.amdhsa_exception_int_div_zero 0
	.end_amdhsa_kernel
	.section	.text._ZN2at6native12_GLOBAL__N_127reflection_pad2d_out_kernelIsEEvPKT_PS3_lliiiiiii,"axG",@progbits,_ZN2at6native12_GLOBAL__N_127reflection_pad2d_out_kernelIsEEvPKT_PS3_lliiiiiii,comdat
.Lfunc_end4:
	.size	_ZN2at6native12_GLOBAL__N_127reflection_pad2d_out_kernelIsEEvPKT_PS3_lliiiiiii, .Lfunc_end4-_ZN2at6native12_GLOBAL__N_127reflection_pad2d_out_kernelIsEEvPKT_PS3_lliiiiiii
                                        ; -- End function
	.section	.AMDGPU.csdata,"",@progbits
; Kernel info:
; codeLenInByte = 1572
; NumSgprs: 40
; NumVgprs: 13
; NumAgprs: 0
; TotalNumVgprs: 13
; ScratchSize: 0
; MemoryBound: 0
; FloatMode: 240
; IeeeMode: 1
; LDSByteSize: 0 bytes/workgroup (compile time only)
; SGPRBlocks: 4
; VGPRBlocks: 1
; NumSGPRsForWavesPerEU: 40
; NumVGPRsForWavesPerEU: 13
; AccumOffset: 16
; Occupancy: 8
; WaveLimiterHint : 0
; COMPUTE_PGM_RSRC2:SCRATCH_EN: 0
; COMPUTE_PGM_RSRC2:USER_SGPR: 6
; COMPUTE_PGM_RSRC2:TRAP_HANDLER: 0
; COMPUTE_PGM_RSRC2:TGID_X_EN: 1
; COMPUTE_PGM_RSRC2:TGID_Y_EN: 1
; COMPUTE_PGM_RSRC2:TGID_Z_EN: 1
; COMPUTE_PGM_RSRC2:TIDIG_COMP_CNT: 0
; COMPUTE_PGM_RSRC3_GFX90A:ACCUM_OFFSET: 3
; COMPUTE_PGM_RSRC3_GFX90A:TG_SPLIT: 0
	.section	.text._ZN2at6native12_GLOBAL__N_127reflection_pad2d_out_kernelIdEEvPKT_PS3_lliiiiiii,"axG",@progbits,_ZN2at6native12_GLOBAL__N_127reflection_pad2d_out_kernelIdEEvPKT_PS3_lliiiiiii,comdat
	.globl	_ZN2at6native12_GLOBAL__N_127reflection_pad2d_out_kernelIdEEvPKT_PS3_lliiiiiii ; -- Begin function _ZN2at6native12_GLOBAL__N_127reflection_pad2d_out_kernelIdEEvPKT_PS3_lliiiiiii
	.p2align	8
	.type	_ZN2at6native12_GLOBAL__N_127reflection_pad2d_out_kernelIdEEvPKT_PS3_lliiiiiii,@function
_ZN2at6native12_GLOBAL__N_127reflection_pad2d_out_kernelIdEEvPKT_PS3_lliiiiiii: ; @_ZN2at6native12_GLOBAL__N_127reflection_pad2d_out_kernelIdEEvPKT_PS3_lliiiiiii
; %bb.0:
	s_load_dword s9, s[4:5], 0x4c
	s_load_dwordx4 s[0:3], s[4:5], 0x20
	s_load_dwordx8 s[12:19], s[4:5], 0x0
	v_mov_b32_e32 v1, 0
	s_waitcnt lgkmcnt(0)
	s_and_b32 s9, s9, 0xffff
	s_ashr_i32 s11, s2, 31
	s_add_u32 s31, s2, s16
	s_mul_i32 s6, s6, s9
	s_mov_b32 s10, s2
	s_addc_u32 s33, s11, s17
	s_ashr_i32 s2, s3, 31
	v_add_u32_e32 v0, s6, v0
	s_add_u32 s6, s31, s3
	s_addc_u32 s3, s33, s2
	s_ashr_i32 s25, s0, 31
	s_add_u32 s34, s0, s18
	s_mov_b32 s24, s0
	s_addc_u32 s35, s25, s19
	s_ashr_i32 s0, s1, 31
	s_add_u32 s9, s34, s1
	s_addc_u32 s30, s35, s0
	s_mul_i32 s0, s6, s30
	s_mul_hi_u32 s1, s6, s9
	s_add_i32 s0, s1, s0
	s_mul_i32 s1, s3, s9
	s_add_i32 s1, s0, s1
	s_mul_i32 s0, s6, s9
	v_cmp_gt_i64_e32 vcc, s[0:1], v[0:1]
	s_and_saveexec_b64 s[0:1], vcc
	s_cbranch_execz .LBB5_5
; %bb.1:
	s_load_dwordx4 s[20:23], s[4:5], 0x30
	s_mov_b32 s2, 0
	s_cmp_lg_u64 s[2:3], 0
	s_cbranch_scc0 .LBB5_6
; %bb.2:
	s_ashr_i32 s26, s3, 31
	s_add_u32 s0, s6, s26
	s_mov_b32 s27, s26
	s_addc_u32 s1, s3, s26
	s_xor_b64 s[28:29], s[0:1], s[26:27]
	v_cvt_f32_u32_e32 v1, s28
	v_cvt_f32_u32_e32 v2, s29
	s_sub_u32 s0, 0, s28
	s_subb_u32 s1, 0, s29
	v_madmk_f32 v1, v2, 0x4f800000, v1
	v_rcp_f32_e32 v1, v1
	v_mul_f32_e32 v1, 0x5f7ffffc, v1
	v_mul_f32_e32 v2, 0x2f800000, v1
	v_trunc_f32_e32 v2, v2
	v_madmk_f32 v1, v2, 0xcf800000, v1
	v_cvt_u32_f32_e32 v2, v2
	v_cvt_u32_f32_e32 v1, v1
	v_mul_lo_u32 v3, s0, v2
	v_mul_hi_u32 v5, s0, v1
	v_mul_lo_u32 v4, s1, v1
	v_add_u32_e32 v3, v5, v3
	v_add_u32_e32 v3, v3, v4
	v_mul_lo_u32 v6, s0, v1
	v_mul_lo_u32 v5, v1, v3
	v_mul_hi_u32 v7, v1, v6
	v_mul_hi_u32 v4, v1, v3
	v_add_co_u32_e32 v5, vcc, v7, v5
	v_addc_co_u32_e32 v4, vcc, 0, v4, vcc
	v_mul_hi_u32 v8, v2, v6
	v_mul_lo_u32 v6, v2, v6
	v_add_co_u32_e32 v5, vcc, v5, v6
	v_mul_hi_u32 v7, v2, v3
	v_addc_co_u32_e32 v4, vcc, v4, v8, vcc
	v_addc_co_u32_e32 v5, vcc, 0, v7, vcc
	v_mul_lo_u32 v3, v2, v3
	v_add_co_u32_e32 v3, vcc, v4, v3
	v_addc_co_u32_e32 v4, vcc, 0, v5, vcc
	v_add_co_u32_e32 v1, vcc, v1, v3
	v_addc_co_u32_e32 v2, vcc, v2, v4, vcc
	v_mul_lo_u32 v3, s0, v2
	v_mul_hi_u32 v4, s0, v1
	v_add_u32_e32 v3, v4, v3
	v_mul_lo_u32 v4, s1, v1
	v_add_u32_e32 v3, v3, v4
	v_mul_lo_u32 v5, s0, v1
	v_mul_hi_u32 v6, v2, v5
	v_mul_lo_u32 v7, v2, v5
	v_mul_lo_u32 v9, v1, v3
	v_mul_hi_u32 v5, v1, v5
	v_mul_hi_u32 v8, v1, v3
	v_add_co_u32_e32 v5, vcc, v5, v9
	v_addc_co_u32_e32 v8, vcc, 0, v8, vcc
	v_add_co_u32_e32 v5, vcc, v5, v7
	v_mul_hi_u32 v4, v2, v3
	v_addc_co_u32_e32 v5, vcc, v8, v6, vcc
	v_addc_co_u32_e32 v4, vcc, 0, v4, vcc
	v_mul_lo_u32 v3, v2, v3
	v_add_co_u32_e32 v3, vcc, v5, v3
	v_addc_co_u32_e32 v4, vcc, 0, v4, vcc
	v_add_co_u32_e32 v1, vcc, v1, v3
	v_addc_co_u32_e32 v4, vcc, v2, v4, vcc
	v_ashrrev_i32_e64 v6, 31, 0
	v_add_co_u32_e32 v2, vcc, v0, v6
	v_addc_co_u32_e32 v3, vcc, 0, v6, vcc
	v_xor_b32_e32 v8, v2, v6
	v_xor_b32_e32 v7, v3, v6
	v_mad_u64_u32 v[2:3], s[0:1], v8, v4, 0
	v_mul_hi_u32 v5, v8, v1
	v_add_co_u32_e32 v9, vcc, v5, v2
	v_addc_co_u32_e32 v10, vcc, 0, v3, vcc
	v_mad_u64_u32 v[2:3], s[0:1], v7, v4, 0
	v_mad_u64_u32 v[4:5], s[0:1], v7, v1, 0
	v_add_co_u32_e32 v1, vcc, v9, v4
	v_addc_co_u32_e32 v1, vcc, v10, v5, vcc
	v_addc_co_u32_e32 v3, vcc, 0, v3, vcc
	v_add_co_u32_e32 v1, vcc, v1, v2
	v_addc_co_u32_e32 v4, vcc, 0, v3, vcc
	v_mul_lo_u32 v5, s29, v1
	v_mul_lo_u32 v9, s28, v4
	v_mad_u64_u32 v[2:3], s[0:1], s28, v1, 0
	v_add3_u32 v3, v3, v9, v5
	v_sub_u32_e32 v5, v7, v3
	v_mov_b32_e32 v9, s29
	v_sub_co_u32_e32 v2, vcc, v8, v2
	v_subb_co_u32_e64 v5, s[0:1], v5, v9, vcc
	v_subrev_co_u32_e64 v8, s[0:1], s28, v2
	v_subbrev_co_u32_e64 v5, s[0:1], 0, v5, s[0:1]
	v_cmp_le_u32_e64 s[0:1], s29, v5
	v_cndmask_b32_e64 v9, 0, -1, s[0:1]
	v_cmp_le_u32_e64 s[0:1], s28, v8
	v_cndmask_b32_e64 v8, 0, -1, s[0:1]
	v_cmp_eq_u32_e64 s[0:1], s29, v5
	v_cndmask_b32_e64 v5, v9, v8, s[0:1]
	v_add_co_u32_e64 v8, s[0:1], 2, v1
	v_subb_co_u32_e32 v3, vcc, v7, v3, vcc
	v_addc_co_u32_e64 v9, s[0:1], 0, v4, s[0:1]
	v_cmp_le_u32_e32 vcc, s29, v3
	v_add_co_u32_e64 v10, s[0:1], 1, v1
	v_cndmask_b32_e64 v7, 0, -1, vcc
	v_cmp_le_u32_e32 vcc, s28, v2
	v_addc_co_u32_e64 v11, s[0:1], 0, v4, s[0:1]
	v_cndmask_b32_e64 v2, 0, -1, vcc
	v_cmp_eq_u32_e32 vcc, s29, v3
	v_cmp_ne_u32_e64 s[0:1], 0, v5
	v_cndmask_b32_e32 v2, v7, v2, vcc
	v_cmp_ne_u32_e32 vcc, 0, v2
	v_cndmask_b32_e64 v3, v10, v8, s[0:1]
	v_cndmask_b32_e64 v5, v11, v9, s[0:1]
	v_cndmask_b32_e32 v1, v1, v3, vcc
	v_xor_b32_e32 v3, s26, v6
	v_cndmask_b32_e32 v2, v4, v5, vcc
	v_xor_b32_e32 v1, v1, v3
	v_xor_b32_e32 v4, v2, v3
	v_sub_co_u32_e32 v2, vcc, v1, v3
	v_subb_co_u32_e32 v3, vcc, v4, v3, vcc
	s_cbranch_execnz .LBB5_4
.LBB5_3:
	v_cvt_f32_u32_e32 v1, s6
	s_sub_i32 s0, 0, s6
	v_rcp_iflag_f32_e32 v1, v1
	v_mul_f32_e32 v1, 0x4f7ffffe, v1
	v_cvt_u32_f32_e32 v1, v1
	v_mul_lo_u32 v2, s0, v1
	v_mul_hi_u32 v2, v1, v2
	v_add_u32_e32 v1, v1, v2
	v_mul_hi_u32 v1, v0, v1
	v_mul_lo_u32 v2, v1, s6
	v_sub_u32_e32 v2, v0, v2
	v_add_u32_e32 v3, 1, v1
	v_subrev_u32_e32 v4, s6, v2
	v_cmp_le_u32_e32 vcc, s6, v2
	v_cndmask_b32_e32 v2, v2, v4, vcc
	v_cndmask_b32_e32 v1, v1, v3, vcc
	v_add_u32_e32 v3, 1, v1
	v_cmp_le_u32_e32 vcc, s6, v2
	v_cndmask_b32_e32 v2, v1, v3, vcc
	v_mov_b32_e32 v3, 0
.LBB5_4:
	s_sub_u32 s0, 0, s24
	s_subb_u32 s1, 0, s25
	s_sub_u32 s4, 0, s10
	s_subb_u32 s5, 0, s11
	s_waitcnt lgkmcnt(0)
	s_add_i32 s2, s7, s20
	s_add_i32 s7, s8, s21
	s_mul_i32 s7, s7, s22
	s_add_i32 s2, s2, s7
	s_mul_i32 s7, s2, s19
	s_mul_hi_u32 s8, s2, s18
	s_add_i32 s8, s8, s7
	s_mul_i32 s7, s2, s18
	v_mul_lo_u32 v1, v3, s6
	v_mul_lo_u32 v6, v2, s3
	v_mad_u64_u32 v[4:5], s[18:19], v2, s6, 0
	v_add3_u32 v1, v5, v6, v1
	v_sub_co_u32_e32 v0, vcc, v0, v4
	v_subb_co_u32_e32 v1, vcc, 0, v1, vcc
	v_mov_b32_e32 v5, s11
	v_subrev_co_u32_e32 v4, vcc, s10, v0
	v_subb_co_u32_e32 v5, vcc, v1, v5, vcc
	v_ashrrev_i32_e32 v6, 31, v5
	v_xor_b32_e32 v4, v4, v6
	v_xor_b32_e32 v5, v5, v6
	v_sub_co_u32_e32 v4, vcc, v4, v6
	v_subb_co_u32_e32 v5, vcc, v5, v6, vcc
	v_mov_b32_e32 v6, s33
	v_subrev_co_u32_e32 v7, vcc, s31, v0
	v_subb_co_u32_e32 v6, vcc, v1, v6, vcc
	v_add_co_u32_e32 v7, vcc, 1, v7
	v_addc_co_u32_e32 v6, vcc, 0, v6, vcc
	v_ashrrev_i32_e32 v8, 31, v6
	v_xor_b32_e32 v7, v7, v8
	v_xor_b32_e32 v6, v6, v8
	v_sub_co_u32_e32 v9, vcc, v7, v8
	v_cmp_gt_i64_e64 s[18:19], s[4:5], 0
	v_subb_co_u32_e32 v8, vcc, v6, v8, vcc
	s_and_b64 s[18:19], s[18:19], exec
	v_mov_b32_e32 v6, s25
	v_subrev_co_u32_e32 v7, vcc, s24, v2
	s_cselect_b32 s18, s5, 0
	s_cselect_b32 s19, s4, 0
	v_cmp_gt_i64_e64 s[4:5], s[0:1], 0
	v_subb_co_u32_e32 v6, vcc, v3, v6, vcc
	s_and_b64 s[4:5], s[4:5], exec
	v_ashrrev_i32_e32 v10, 31, v6
	s_cselect_b32 s20, s1, 0
	s_cselect_b32 s21, s0, 0
	v_cmp_gt_i64_e64 s[0:1], s[10:11], 0
	v_xor_b32_e32 v7, v7, v10
	s_and_b64 s[0:1], s[0:1], exec
	v_cmp_gt_i64_e64 s[4:5], s[24:25], 0
	v_xor_b32_e32 v6, v6, v10
	v_sub_co_u32_e32 v7, vcc, v7, v10
	s_cselect_b32 s1, s11, 0
	s_cselect_b32 s0, s10, 0
	s_and_b64 s[4:5], s[4:5], exec
	v_subb_co_u32_e32 v6, vcc, v6, v10, vcc
	s_cselect_b32 s5, s25, 0
	s_cselect_b32 s4, s24, 0
	v_mov_b32_e32 v10, s35
	v_subrev_co_u32_e32 v11, vcc, s34, v2
	s_not_b64 s[0:1], s[0:1]
	v_subb_co_u32_e32 v10, vcc, v3, v10, vcc
	s_not_b64 s[4:5], s[4:5]
	v_add_co_u32_e32 v11, vcc, 1, v11
	s_add_u32 s22, s34, s24
	v_addc_co_u32_e32 v10, vcc, 0, v10, vcc
	s_addc_u32 s23, s35, s25
	v_ashrrev_i32_e32 v12, 31, v10
	s_add_u32 s4, s22, s4
	v_xor_b32_e32 v11, v11, v12
	s_addc_u32 s5, s23, s5
	v_xor_b32_e32 v10, v10, v12
	v_sub_co_u32_e32 v11, vcc, v11, v12
	s_add_u32 s4, s4, s21
	v_subb_co_u32_e32 v10, vcc, v10, v12, vcc
	s_addc_u32 s5, s5, s20
	s_add_u32 s4, s4, s7
	v_add_co_u32_e32 v11, vcc, v2, v11
	s_addc_u32 s5, s5, s8
	v_addc_co_u32_e32 v10, vcc, v3, v10, vcc
	v_mov_b32_e32 v12, s5
	v_sub_co_u32_e32 v11, vcc, s4, v11
	v_subb_co_u32_e32 v10, vcc, v12, v10, vcc
	v_add_co_u32_e32 v7, vcc, v11, v7
	v_addc_co_u32_e32 v6, vcc, v10, v6, vcc
	v_mul_lo_u32 v10, v6, s16
	v_mul_lo_u32 v11, v7, s17
	v_mad_u64_u32 v[6:7], s[4:5], v7, s16, 0
	s_add_u32 s4, s31, s10
	s_addc_u32 s5, s33, s11
	s_add_u32 s0, s4, s0
	s_addc_u32 s1, s5, s1
	s_add_u32 s0, s0, s19
	v_add_co_u32_e32 v9, vcc, v0, v9
	v_add3_u32 v7, v7, v11, v10
	s_addc_u32 s1, s1, s18
	v_addc_co_u32_e32 v10, vcc, v1, v8, vcc
	v_mov_b32_e32 v11, s1
	v_sub_co_u32_e32 v8, vcc, s0, v9
	v_subb_co_u32_e32 v9, vcc, v11, v10, vcc
	v_lshlrev_b64 v[8:9], 3, v[8:9]
	v_mov_b32_e32 v10, s13
	v_add_co_u32_e32 v8, vcc, s12, v8
	v_addc_co_u32_e32 v9, vcc, v10, v9, vcc
	v_lshlrev_b64 v[4:5], 3, v[4:5]
	v_add_co_u32_e32 v8, vcc, v8, v4
	v_addc_co_u32_e32 v9, vcc, v9, v5, vcc
	v_lshlrev_b64 v[4:5], 3, v[6:7]
	v_add_co_u32_e32 v4, vcc, v8, v4
	v_addc_co_u32_e32 v5, vcc, v9, v5, vcc
	global_load_dwordx2 v[4:5], v[4:5], off
	v_mov_b32_e32 v6, s2
	s_mul_i32 s30, s30, s2
	v_mad_u64_u32 v[2:3], s[0:1], s9, v6, v[2:3]
	v_add_u32_e32 v3, s30, v3
	v_mul_lo_u32 v6, v3, s6
	v_mul_lo_u32 v7, v2, s3
	v_mad_u64_u32 v[2:3], s[0:1], v2, s6, 0
	v_add3_u32 v3, v3, v7, v6
	v_lshlrev_b64 v[2:3], 3, v[2:3]
	v_mov_b32_e32 v6, s15
	v_add_co_u32_e32 v2, vcc, s14, v2
	v_addc_co_u32_e32 v3, vcc, v6, v3, vcc
	v_lshlrev_b64 v[0:1], 3, v[0:1]
	v_add_co_u32_e32 v0, vcc, v2, v0
	v_addc_co_u32_e32 v1, vcc, v3, v1, vcc
	s_waitcnt vmcnt(0)
	global_store_dwordx2 v[0:1], v[4:5], off
.LBB5_5:
	s_endpgm
.LBB5_6:
                                        ; implicit-def: $vgpr2_vgpr3
	s_branch .LBB5_3
	.section	.rodata,"a",@progbits
	.p2align	6, 0x0
	.amdhsa_kernel _ZN2at6native12_GLOBAL__N_127reflection_pad2d_out_kernelIdEEvPKT_PS3_lliiiiiii
		.amdhsa_group_segment_fixed_size 0
		.amdhsa_private_segment_fixed_size 0
		.amdhsa_kernarg_size 320
		.amdhsa_user_sgpr_count 6
		.amdhsa_user_sgpr_private_segment_buffer 1
		.amdhsa_user_sgpr_dispatch_ptr 0
		.amdhsa_user_sgpr_queue_ptr 0
		.amdhsa_user_sgpr_kernarg_segment_ptr 1
		.amdhsa_user_sgpr_dispatch_id 0
		.amdhsa_user_sgpr_flat_scratch_init 0
		.amdhsa_user_sgpr_kernarg_preload_length 0
		.amdhsa_user_sgpr_kernarg_preload_offset 0
		.amdhsa_user_sgpr_private_segment_size 0
		.amdhsa_uses_dynamic_stack 0
		.amdhsa_system_sgpr_private_segment_wavefront_offset 0
		.amdhsa_system_sgpr_workgroup_id_x 1
		.amdhsa_system_sgpr_workgroup_id_y 1
		.amdhsa_system_sgpr_workgroup_id_z 1
		.amdhsa_system_sgpr_workgroup_info 0
		.amdhsa_system_vgpr_workitem_id 0
		.amdhsa_next_free_vgpr 13
		.amdhsa_next_free_sgpr 36
		.amdhsa_accum_offset 16
		.amdhsa_reserve_vcc 1
		.amdhsa_reserve_flat_scratch 0
		.amdhsa_float_round_mode_32 0
		.amdhsa_float_round_mode_16_64 0
		.amdhsa_float_denorm_mode_32 3
		.amdhsa_float_denorm_mode_16_64 3
		.amdhsa_dx10_clamp 1
		.amdhsa_ieee_mode 1
		.amdhsa_fp16_overflow 0
		.amdhsa_tg_split 0
		.amdhsa_exception_fp_ieee_invalid_op 0
		.amdhsa_exception_fp_denorm_src 0
		.amdhsa_exception_fp_ieee_div_zero 0
		.amdhsa_exception_fp_ieee_overflow 0
		.amdhsa_exception_fp_ieee_underflow 0
		.amdhsa_exception_fp_ieee_inexact 0
		.amdhsa_exception_int_div_zero 0
	.end_amdhsa_kernel
	.section	.text._ZN2at6native12_GLOBAL__N_127reflection_pad2d_out_kernelIdEEvPKT_PS3_lliiiiiii,"axG",@progbits,_ZN2at6native12_GLOBAL__N_127reflection_pad2d_out_kernelIdEEvPKT_PS3_lliiiiiii,comdat
.Lfunc_end5:
	.size	_ZN2at6native12_GLOBAL__N_127reflection_pad2d_out_kernelIdEEvPKT_PS3_lliiiiiii, .Lfunc_end5-_ZN2at6native12_GLOBAL__N_127reflection_pad2d_out_kernelIdEEvPKT_PS3_lliiiiiii
                                        ; -- End function
	.section	.AMDGPU.csdata,"",@progbits
; Kernel info:
; codeLenInByte = 1572
; NumSgprs: 40
; NumVgprs: 13
; NumAgprs: 0
; TotalNumVgprs: 13
; ScratchSize: 0
; MemoryBound: 0
; FloatMode: 240
; IeeeMode: 1
; LDSByteSize: 0 bytes/workgroup (compile time only)
; SGPRBlocks: 4
; VGPRBlocks: 1
; NumSGPRsForWavesPerEU: 40
; NumVGPRsForWavesPerEU: 13
; AccumOffset: 16
; Occupancy: 8
; WaveLimiterHint : 0
; COMPUTE_PGM_RSRC2:SCRATCH_EN: 0
; COMPUTE_PGM_RSRC2:USER_SGPR: 6
; COMPUTE_PGM_RSRC2:TRAP_HANDLER: 0
; COMPUTE_PGM_RSRC2:TGID_X_EN: 1
; COMPUTE_PGM_RSRC2:TGID_Y_EN: 1
; COMPUTE_PGM_RSRC2:TGID_Z_EN: 1
; COMPUTE_PGM_RSRC2:TIDIG_COMP_CNT: 0
; COMPUTE_PGM_RSRC3_GFX90A:ACCUM_OFFSET: 3
; COMPUTE_PGM_RSRC3_GFX90A:TG_SPLIT: 0
	.section	.text._ZN2at6native12_GLOBAL__N_127reflection_pad2d_out_kernelIfEEvPKT_PS3_lliiiiiii,"axG",@progbits,_ZN2at6native12_GLOBAL__N_127reflection_pad2d_out_kernelIfEEvPKT_PS3_lliiiiiii,comdat
	.globl	_ZN2at6native12_GLOBAL__N_127reflection_pad2d_out_kernelIfEEvPKT_PS3_lliiiiiii ; -- Begin function _ZN2at6native12_GLOBAL__N_127reflection_pad2d_out_kernelIfEEvPKT_PS3_lliiiiiii
	.p2align	8
	.type	_ZN2at6native12_GLOBAL__N_127reflection_pad2d_out_kernelIfEEvPKT_PS3_lliiiiiii,@function
_ZN2at6native12_GLOBAL__N_127reflection_pad2d_out_kernelIfEEvPKT_PS3_lliiiiiii: ; @_ZN2at6native12_GLOBAL__N_127reflection_pad2d_out_kernelIfEEvPKT_PS3_lliiiiiii
; %bb.0:
	s_load_dword s9, s[4:5], 0x4c
	s_load_dwordx4 s[0:3], s[4:5], 0x20
	s_load_dwordx8 s[12:19], s[4:5], 0x0
	v_mov_b32_e32 v1, 0
	s_waitcnt lgkmcnt(0)
	s_and_b32 s9, s9, 0xffff
	s_ashr_i32 s11, s2, 31
	s_add_u32 s31, s2, s16
	s_mul_i32 s6, s6, s9
	s_mov_b32 s10, s2
	s_addc_u32 s33, s11, s17
	s_ashr_i32 s2, s3, 31
	v_add_u32_e32 v0, s6, v0
	s_add_u32 s6, s31, s3
	s_addc_u32 s3, s33, s2
	s_ashr_i32 s25, s0, 31
	s_add_u32 s34, s0, s18
	s_mov_b32 s24, s0
	s_addc_u32 s35, s25, s19
	s_ashr_i32 s0, s1, 31
	s_add_u32 s9, s34, s1
	s_addc_u32 s30, s35, s0
	s_mul_i32 s0, s6, s30
	s_mul_hi_u32 s1, s6, s9
	s_add_i32 s0, s1, s0
	s_mul_i32 s1, s3, s9
	s_add_i32 s1, s0, s1
	s_mul_i32 s0, s6, s9
	v_cmp_gt_i64_e32 vcc, s[0:1], v[0:1]
	s_and_saveexec_b64 s[0:1], vcc
	s_cbranch_execz .LBB6_5
; %bb.1:
	s_load_dwordx4 s[20:23], s[4:5], 0x30
	s_mov_b32 s2, 0
	s_cmp_lg_u64 s[2:3], 0
	s_cbranch_scc0 .LBB6_6
; %bb.2:
	s_ashr_i32 s26, s3, 31
	s_add_u32 s0, s6, s26
	s_mov_b32 s27, s26
	s_addc_u32 s1, s3, s26
	s_xor_b64 s[28:29], s[0:1], s[26:27]
	v_cvt_f32_u32_e32 v1, s28
	v_cvt_f32_u32_e32 v2, s29
	s_sub_u32 s0, 0, s28
	s_subb_u32 s1, 0, s29
	v_madmk_f32 v1, v2, 0x4f800000, v1
	v_rcp_f32_e32 v1, v1
	v_mul_f32_e32 v1, 0x5f7ffffc, v1
	v_mul_f32_e32 v2, 0x2f800000, v1
	v_trunc_f32_e32 v2, v2
	v_madmk_f32 v1, v2, 0xcf800000, v1
	v_cvt_u32_f32_e32 v2, v2
	v_cvt_u32_f32_e32 v1, v1
	v_mul_lo_u32 v3, s0, v2
	v_mul_hi_u32 v5, s0, v1
	v_mul_lo_u32 v4, s1, v1
	v_add_u32_e32 v3, v5, v3
	v_add_u32_e32 v3, v3, v4
	v_mul_lo_u32 v6, s0, v1
	v_mul_lo_u32 v5, v1, v3
	v_mul_hi_u32 v7, v1, v6
	v_mul_hi_u32 v4, v1, v3
	v_add_co_u32_e32 v5, vcc, v7, v5
	v_addc_co_u32_e32 v4, vcc, 0, v4, vcc
	v_mul_hi_u32 v8, v2, v6
	v_mul_lo_u32 v6, v2, v6
	v_add_co_u32_e32 v5, vcc, v5, v6
	v_mul_hi_u32 v7, v2, v3
	v_addc_co_u32_e32 v4, vcc, v4, v8, vcc
	v_addc_co_u32_e32 v5, vcc, 0, v7, vcc
	v_mul_lo_u32 v3, v2, v3
	v_add_co_u32_e32 v3, vcc, v4, v3
	v_addc_co_u32_e32 v4, vcc, 0, v5, vcc
	v_add_co_u32_e32 v1, vcc, v1, v3
	v_addc_co_u32_e32 v2, vcc, v2, v4, vcc
	v_mul_lo_u32 v3, s0, v2
	v_mul_hi_u32 v4, s0, v1
	v_add_u32_e32 v3, v4, v3
	v_mul_lo_u32 v4, s1, v1
	v_add_u32_e32 v3, v3, v4
	v_mul_lo_u32 v5, s0, v1
	v_mul_hi_u32 v6, v2, v5
	v_mul_lo_u32 v7, v2, v5
	v_mul_lo_u32 v9, v1, v3
	v_mul_hi_u32 v5, v1, v5
	v_mul_hi_u32 v8, v1, v3
	v_add_co_u32_e32 v5, vcc, v5, v9
	v_addc_co_u32_e32 v8, vcc, 0, v8, vcc
	v_add_co_u32_e32 v5, vcc, v5, v7
	v_mul_hi_u32 v4, v2, v3
	v_addc_co_u32_e32 v5, vcc, v8, v6, vcc
	v_addc_co_u32_e32 v4, vcc, 0, v4, vcc
	v_mul_lo_u32 v3, v2, v3
	v_add_co_u32_e32 v3, vcc, v5, v3
	v_addc_co_u32_e32 v4, vcc, 0, v4, vcc
	v_add_co_u32_e32 v1, vcc, v1, v3
	v_addc_co_u32_e32 v4, vcc, v2, v4, vcc
	v_ashrrev_i32_e64 v6, 31, 0
	v_add_co_u32_e32 v2, vcc, v0, v6
	v_addc_co_u32_e32 v3, vcc, 0, v6, vcc
	v_xor_b32_e32 v8, v2, v6
	v_xor_b32_e32 v7, v3, v6
	v_mad_u64_u32 v[2:3], s[0:1], v8, v4, 0
	v_mul_hi_u32 v5, v8, v1
	v_add_co_u32_e32 v9, vcc, v5, v2
	v_addc_co_u32_e32 v10, vcc, 0, v3, vcc
	v_mad_u64_u32 v[2:3], s[0:1], v7, v4, 0
	v_mad_u64_u32 v[4:5], s[0:1], v7, v1, 0
	v_add_co_u32_e32 v1, vcc, v9, v4
	v_addc_co_u32_e32 v1, vcc, v10, v5, vcc
	v_addc_co_u32_e32 v3, vcc, 0, v3, vcc
	v_add_co_u32_e32 v1, vcc, v1, v2
	v_addc_co_u32_e32 v4, vcc, 0, v3, vcc
	v_mul_lo_u32 v5, s29, v1
	v_mul_lo_u32 v9, s28, v4
	v_mad_u64_u32 v[2:3], s[0:1], s28, v1, 0
	v_add3_u32 v3, v3, v9, v5
	v_sub_u32_e32 v5, v7, v3
	v_mov_b32_e32 v9, s29
	v_sub_co_u32_e32 v2, vcc, v8, v2
	v_subb_co_u32_e64 v5, s[0:1], v5, v9, vcc
	v_subrev_co_u32_e64 v8, s[0:1], s28, v2
	v_subbrev_co_u32_e64 v5, s[0:1], 0, v5, s[0:1]
	v_cmp_le_u32_e64 s[0:1], s29, v5
	v_cndmask_b32_e64 v9, 0, -1, s[0:1]
	v_cmp_le_u32_e64 s[0:1], s28, v8
	v_cndmask_b32_e64 v8, 0, -1, s[0:1]
	v_cmp_eq_u32_e64 s[0:1], s29, v5
	v_cndmask_b32_e64 v5, v9, v8, s[0:1]
	v_add_co_u32_e64 v8, s[0:1], 2, v1
	v_subb_co_u32_e32 v3, vcc, v7, v3, vcc
	v_addc_co_u32_e64 v9, s[0:1], 0, v4, s[0:1]
	v_cmp_le_u32_e32 vcc, s29, v3
	v_add_co_u32_e64 v10, s[0:1], 1, v1
	v_cndmask_b32_e64 v7, 0, -1, vcc
	v_cmp_le_u32_e32 vcc, s28, v2
	v_addc_co_u32_e64 v11, s[0:1], 0, v4, s[0:1]
	v_cndmask_b32_e64 v2, 0, -1, vcc
	v_cmp_eq_u32_e32 vcc, s29, v3
	v_cmp_ne_u32_e64 s[0:1], 0, v5
	v_cndmask_b32_e32 v2, v7, v2, vcc
	v_cmp_ne_u32_e32 vcc, 0, v2
	v_cndmask_b32_e64 v3, v10, v8, s[0:1]
	v_cndmask_b32_e64 v5, v11, v9, s[0:1]
	v_cndmask_b32_e32 v1, v1, v3, vcc
	v_xor_b32_e32 v3, s26, v6
	v_cndmask_b32_e32 v2, v4, v5, vcc
	v_xor_b32_e32 v1, v1, v3
	v_xor_b32_e32 v4, v2, v3
	v_sub_co_u32_e32 v2, vcc, v1, v3
	v_subb_co_u32_e32 v3, vcc, v4, v3, vcc
	s_cbranch_execnz .LBB6_4
.LBB6_3:
	v_cvt_f32_u32_e32 v1, s6
	s_sub_i32 s0, 0, s6
	v_rcp_iflag_f32_e32 v1, v1
	v_mul_f32_e32 v1, 0x4f7ffffe, v1
	v_cvt_u32_f32_e32 v1, v1
	v_mul_lo_u32 v2, s0, v1
	v_mul_hi_u32 v2, v1, v2
	v_add_u32_e32 v1, v1, v2
	v_mul_hi_u32 v1, v0, v1
	v_mul_lo_u32 v2, v1, s6
	v_sub_u32_e32 v2, v0, v2
	v_add_u32_e32 v3, 1, v1
	v_subrev_u32_e32 v4, s6, v2
	v_cmp_le_u32_e32 vcc, s6, v2
	v_cndmask_b32_e32 v2, v2, v4, vcc
	v_cndmask_b32_e32 v1, v1, v3, vcc
	v_add_u32_e32 v3, 1, v1
	v_cmp_le_u32_e32 vcc, s6, v2
	v_cndmask_b32_e32 v2, v1, v3, vcc
	v_mov_b32_e32 v3, 0
.LBB6_4:
	s_sub_u32 s0, 0, s24
	s_subb_u32 s1, 0, s25
	s_sub_u32 s4, 0, s10
	s_subb_u32 s5, 0, s11
	s_waitcnt lgkmcnt(0)
	s_add_i32 s2, s7, s20
	s_add_i32 s7, s8, s21
	s_mul_i32 s7, s7, s22
	s_add_i32 s2, s2, s7
	s_mul_i32 s7, s2, s19
	s_mul_hi_u32 s8, s2, s18
	s_add_i32 s8, s8, s7
	s_mul_i32 s7, s2, s18
	v_mul_lo_u32 v1, v3, s6
	v_mul_lo_u32 v6, v2, s3
	v_mad_u64_u32 v[4:5], s[18:19], v2, s6, 0
	v_add3_u32 v1, v5, v6, v1
	v_sub_co_u32_e32 v0, vcc, v0, v4
	v_subb_co_u32_e32 v1, vcc, 0, v1, vcc
	v_mov_b32_e32 v5, s11
	v_subrev_co_u32_e32 v4, vcc, s10, v0
	v_subb_co_u32_e32 v5, vcc, v1, v5, vcc
	v_ashrrev_i32_e32 v6, 31, v5
	v_xor_b32_e32 v4, v4, v6
	v_xor_b32_e32 v5, v5, v6
	v_sub_co_u32_e32 v4, vcc, v4, v6
	v_subb_co_u32_e32 v5, vcc, v5, v6, vcc
	v_mov_b32_e32 v6, s33
	v_subrev_co_u32_e32 v7, vcc, s31, v0
	v_subb_co_u32_e32 v6, vcc, v1, v6, vcc
	v_add_co_u32_e32 v7, vcc, 1, v7
	v_addc_co_u32_e32 v6, vcc, 0, v6, vcc
	v_ashrrev_i32_e32 v8, 31, v6
	v_xor_b32_e32 v7, v7, v8
	v_xor_b32_e32 v6, v6, v8
	v_sub_co_u32_e32 v9, vcc, v7, v8
	v_cmp_gt_i64_e64 s[18:19], s[4:5], 0
	v_subb_co_u32_e32 v8, vcc, v6, v8, vcc
	s_and_b64 s[18:19], s[18:19], exec
	v_mov_b32_e32 v6, s25
	v_subrev_co_u32_e32 v7, vcc, s24, v2
	s_cselect_b32 s18, s5, 0
	s_cselect_b32 s19, s4, 0
	v_cmp_gt_i64_e64 s[4:5], s[0:1], 0
	v_subb_co_u32_e32 v6, vcc, v3, v6, vcc
	s_and_b64 s[4:5], s[4:5], exec
	v_ashrrev_i32_e32 v10, 31, v6
	s_cselect_b32 s20, s1, 0
	s_cselect_b32 s21, s0, 0
	v_cmp_gt_i64_e64 s[0:1], s[10:11], 0
	v_xor_b32_e32 v7, v7, v10
	s_and_b64 s[0:1], s[0:1], exec
	v_cmp_gt_i64_e64 s[4:5], s[24:25], 0
	v_xor_b32_e32 v6, v6, v10
	v_sub_co_u32_e32 v7, vcc, v7, v10
	s_cselect_b32 s1, s11, 0
	s_cselect_b32 s0, s10, 0
	s_and_b64 s[4:5], s[4:5], exec
	v_subb_co_u32_e32 v6, vcc, v6, v10, vcc
	s_cselect_b32 s5, s25, 0
	s_cselect_b32 s4, s24, 0
	v_mov_b32_e32 v10, s35
	v_subrev_co_u32_e32 v11, vcc, s34, v2
	s_not_b64 s[0:1], s[0:1]
	v_subb_co_u32_e32 v10, vcc, v3, v10, vcc
	s_not_b64 s[4:5], s[4:5]
	v_add_co_u32_e32 v11, vcc, 1, v11
	s_add_u32 s22, s34, s24
	v_addc_co_u32_e32 v10, vcc, 0, v10, vcc
	s_addc_u32 s23, s35, s25
	v_ashrrev_i32_e32 v12, 31, v10
	s_add_u32 s4, s22, s4
	v_xor_b32_e32 v11, v11, v12
	s_addc_u32 s5, s23, s5
	v_xor_b32_e32 v10, v10, v12
	v_sub_co_u32_e32 v11, vcc, v11, v12
	s_add_u32 s4, s4, s21
	v_subb_co_u32_e32 v10, vcc, v10, v12, vcc
	s_addc_u32 s5, s5, s20
	s_add_u32 s4, s4, s7
	v_add_co_u32_e32 v11, vcc, v2, v11
	s_addc_u32 s5, s5, s8
	v_addc_co_u32_e32 v10, vcc, v3, v10, vcc
	v_mov_b32_e32 v12, s5
	v_sub_co_u32_e32 v11, vcc, s4, v11
	v_subb_co_u32_e32 v10, vcc, v12, v10, vcc
	v_add_co_u32_e32 v7, vcc, v11, v7
	v_addc_co_u32_e32 v6, vcc, v10, v6, vcc
	v_mul_lo_u32 v10, v6, s16
	v_mul_lo_u32 v11, v7, s17
	v_mad_u64_u32 v[6:7], s[4:5], v7, s16, 0
	s_add_u32 s4, s31, s10
	s_addc_u32 s5, s33, s11
	s_add_u32 s0, s4, s0
	s_addc_u32 s1, s5, s1
	s_add_u32 s0, s0, s19
	v_add_co_u32_e32 v9, vcc, v0, v9
	v_add3_u32 v7, v7, v11, v10
	s_addc_u32 s1, s1, s18
	v_addc_co_u32_e32 v10, vcc, v1, v8, vcc
	v_mov_b32_e32 v11, s1
	v_sub_co_u32_e32 v8, vcc, s0, v9
	v_subb_co_u32_e32 v9, vcc, v11, v10, vcc
	v_lshlrev_b64 v[8:9], 2, v[8:9]
	v_mov_b32_e32 v10, s13
	v_add_co_u32_e32 v8, vcc, s12, v8
	v_addc_co_u32_e32 v9, vcc, v10, v9, vcc
	v_lshlrev_b64 v[4:5], 2, v[4:5]
	v_add_co_u32_e32 v8, vcc, v8, v4
	v_addc_co_u32_e32 v9, vcc, v9, v5, vcc
	v_lshlrev_b64 v[4:5], 2, v[6:7]
	v_add_co_u32_e32 v4, vcc, v8, v4
	v_addc_co_u32_e32 v5, vcc, v9, v5, vcc
	global_load_dword v4, v[4:5], off
	v_mov_b32_e32 v5, s2
	s_mul_i32 s30, s30, s2
	v_mad_u64_u32 v[2:3], s[0:1], s9, v5, v[2:3]
	v_add_u32_e32 v3, s30, v3
	v_mul_lo_u32 v5, v3, s6
	v_mul_lo_u32 v6, v2, s3
	v_mad_u64_u32 v[2:3], s[0:1], v2, s6, 0
	v_add3_u32 v3, v3, v6, v5
	v_lshlrev_b64 v[2:3], 2, v[2:3]
	v_mov_b32_e32 v5, s15
	v_add_co_u32_e32 v2, vcc, s14, v2
	v_addc_co_u32_e32 v3, vcc, v5, v3, vcc
	v_lshlrev_b64 v[0:1], 2, v[0:1]
	v_add_co_u32_e32 v0, vcc, v2, v0
	v_addc_co_u32_e32 v1, vcc, v3, v1, vcc
	s_waitcnt vmcnt(0)
	global_store_dword v[0:1], v4, off
.LBB6_5:
	s_endpgm
.LBB6_6:
                                        ; implicit-def: $vgpr2_vgpr3
	s_branch .LBB6_3
	.section	.rodata,"a",@progbits
	.p2align	6, 0x0
	.amdhsa_kernel _ZN2at6native12_GLOBAL__N_127reflection_pad2d_out_kernelIfEEvPKT_PS3_lliiiiiii
		.amdhsa_group_segment_fixed_size 0
		.amdhsa_private_segment_fixed_size 0
		.amdhsa_kernarg_size 320
		.amdhsa_user_sgpr_count 6
		.amdhsa_user_sgpr_private_segment_buffer 1
		.amdhsa_user_sgpr_dispatch_ptr 0
		.amdhsa_user_sgpr_queue_ptr 0
		.amdhsa_user_sgpr_kernarg_segment_ptr 1
		.amdhsa_user_sgpr_dispatch_id 0
		.amdhsa_user_sgpr_flat_scratch_init 0
		.amdhsa_user_sgpr_kernarg_preload_length 0
		.amdhsa_user_sgpr_kernarg_preload_offset 0
		.amdhsa_user_sgpr_private_segment_size 0
		.amdhsa_uses_dynamic_stack 0
		.amdhsa_system_sgpr_private_segment_wavefront_offset 0
		.amdhsa_system_sgpr_workgroup_id_x 1
		.amdhsa_system_sgpr_workgroup_id_y 1
		.amdhsa_system_sgpr_workgroup_id_z 1
		.amdhsa_system_sgpr_workgroup_info 0
		.amdhsa_system_vgpr_workitem_id 0
		.amdhsa_next_free_vgpr 13
		.amdhsa_next_free_sgpr 36
		.amdhsa_accum_offset 16
		.amdhsa_reserve_vcc 1
		.amdhsa_reserve_flat_scratch 0
		.amdhsa_float_round_mode_32 0
		.amdhsa_float_round_mode_16_64 0
		.amdhsa_float_denorm_mode_32 3
		.amdhsa_float_denorm_mode_16_64 3
		.amdhsa_dx10_clamp 1
		.amdhsa_ieee_mode 1
		.amdhsa_fp16_overflow 0
		.amdhsa_tg_split 0
		.amdhsa_exception_fp_ieee_invalid_op 0
		.amdhsa_exception_fp_denorm_src 0
		.amdhsa_exception_fp_ieee_div_zero 0
		.amdhsa_exception_fp_ieee_overflow 0
		.amdhsa_exception_fp_ieee_underflow 0
		.amdhsa_exception_fp_ieee_inexact 0
		.amdhsa_exception_int_div_zero 0
	.end_amdhsa_kernel
	.section	.text._ZN2at6native12_GLOBAL__N_127reflection_pad2d_out_kernelIfEEvPKT_PS3_lliiiiiii,"axG",@progbits,_ZN2at6native12_GLOBAL__N_127reflection_pad2d_out_kernelIfEEvPKT_PS3_lliiiiiii,comdat
.Lfunc_end6:
	.size	_ZN2at6native12_GLOBAL__N_127reflection_pad2d_out_kernelIfEEvPKT_PS3_lliiiiiii, .Lfunc_end6-_ZN2at6native12_GLOBAL__N_127reflection_pad2d_out_kernelIfEEvPKT_PS3_lliiiiiii
                                        ; -- End function
	.section	.AMDGPU.csdata,"",@progbits
; Kernel info:
; codeLenInByte = 1572
; NumSgprs: 40
; NumVgprs: 13
; NumAgprs: 0
; TotalNumVgprs: 13
; ScratchSize: 0
; MemoryBound: 0
; FloatMode: 240
; IeeeMode: 1
; LDSByteSize: 0 bytes/workgroup (compile time only)
; SGPRBlocks: 4
; VGPRBlocks: 1
; NumSGPRsForWavesPerEU: 40
; NumVGPRsForWavesPerEU: 13
; AccumOffset: 16
; Occupancy: 8
; WaveLimiterHint : 0
; COMPUTE_PGM_RSRC2:SCRATCH_EN: 0
; COMPUTE_PGM_RSRC2:USER_SGPR: 6
; COMPUTE_PGM_RSRC2:TRAP_HANDLER: 0
; COMPUTE_PGM_RSRC2:TGID_X_EN: 1
; COMPUTE_PGM_RSRC2:TGID_Y_EN: 1
; COMPUTE_PGM_RSRC2:TGID_Z_EN: 1
; COMPUTE_PGM_RSRC2:TIDIG_COMP_CNT: 0
; COMPUTE_PGM_RSRC3_GFX90A:ACCUM_OFFSET: 3
; COMPUTE_PGM_RSRC3_GFX90A:TG_SPLIT: 0
	.section	.text._ZN2at6native12_GLOBAL__N_127reflection_pad2d_out_kernelIN3c107complexIdEEEEvPKT_PS6_lliiiiiii,"axG",@progbits,_ZN2at6native12_GLOBAL__N_127reflection_pad2d_out_kernelIN3c107complexIdEEEEvPKT_PS6_lliiiiiii,comdat
	.globl	_ZN2at6native12_GLOBAL__N_127reflection_pad2d_out_kernelIN3c107complexIdEEEEvPKT_PS6_lliiiiiii ; -- Begin function _ZN2at6native12_GLOBAL__N_127reflection_pad2d_out_kernelIN3c107complexIdEEEEvPKT_PS6_lliiiiiii
	.p2align	8
	.type	_ZN2at6native12_GLOBAL__N_127reflection_pad2d_out_kernelIN3c107complexIdEEEEvPKT_PS6_lliiiiiii,@function
_ZN2at6native12_GLOBAL__N_127reflection_pad2d_out_kernelIN3c107complexIdEEEEvPKT_PS6_lliiiiiii: ; @_ZN2at6native12_GLOBAL__N_127reflection_pad2d_out_kernelIN3c107complexIdEEEEvPKT_PS6_lliiiiiii
; %bb.0:
	s_load_dword s9, s[4:5], 0x4c
	s_load_dwordx4 s[0:3], s[4:5], 0x20
	s_load_dwordx8 s[12:19], s[4:5], 0x0
	v_mov_b32_e32 v1, 0
	s_waitcnt lgkmcnt(0)
	s_and_b32 s9, s9, 0xffff
	s_ashr_i32 s11, s2, 31
	s_add_u32 s31, s2, s16
	s_mul_i32 s6, s6, s9
	s_mov_b32 s10, s2
	s_addc_u32 s33, s11, s17
	s_ashr_i32 s2, s3, 31
	v_add_u32_e32 v0, s6, v0
	s_add_u32 s6, s31, s3
	s_addc_u32 s3, s33, s2
	s_ashr_i32 s25, s0, 31
	s_add_u32 s34, s0, s18
	s_mov_b32 s24, s0
	s_addc_u32 s35, s25, s19
	s_ashr_i32 s0, s1, 31
	s_add_u32 s9, s34, s1
	s_addc_u32 s30, s35, s0
	s_mul_i32 s0, s6, s30
	s_mul_hi_u32 s1, s6, s9
	s_add_i32 s0, s1, s0
	s_mul_i32 s1, s3, s9
	s_add_i32 s1, s0, s1
	s_mul_i32 s0, s6, s9
	v_cmp_gt_i64_e32 vcc, s[0:1], v[0:1]
	s_and_saveexec_b64 s[0:1], vcc
	s_cbranch_execz .LBB7_5
; %bb.1:
	s_load_dwordx4 s[20:23], s[4:5], 0x30
	s_mov_b32 s2, 0
	s_cmp_lg_u64 s[2:3], 0
	s_cbranch_scc0 .LBB7_6
; %bb.2:
	s_ashr_i32 s26, s3, 31
	s_add_u32 s0, s6, s26
	s_mov_b32 s27, s26
	s_addc_u32 s1, s3, s26
	s_xor_b64 s[28:29], s[0:1], s[26:27]
	v_cvt_f32_u32_e32 v1, s28
	v_cvt_f32_u32_e32 v2, s29
	s_sub_u32 s0, 0, s28
	s_subb_u32 s1, 0, s29
	v_madmk_f32 v1, v2, 0x4f800000, v1
	v_rcp_f32_e32 v1, v1
	v_mul_f32_e32 v1, 0x5f7ffffc, v1
	v_mul_f32_e32 v2, 0x2f800000, v1
	v_trunc_f32_e32 v2, v2
	v_madmk_f32 v1, v2, 0xcf800000, v1
	v_cvt_u32_f32_e32 v2, v2
	v_cvt_u32_f32_e32 v1, v1
	v_mul_lo_u32 v3, s0, v2
	v_mul_hi_u32 v5, s0, v1
	v_mul_lo_u32 v4, s1, v1
	v_add_u32_e32 v3, v5, v3
	v_add_u32_e32 v3, v3, v4
	v_mul_lo_u32 v6, s0, v1
	v_mul_lo_u32 v5, v1, v3
	v_mul_hi_u32 v7, v1, v6
	v_mul_hi_u32 v4, v1, v3
	v_add_co_u32_e32 v5, vcc, v7, v5
	v_addc_co_u32_e32 v4, vcc, 0, v4, vcc
	v_mul_hi_u32 v8, v2, v6
	v_mul_lo_u32 v6, v2, v6
	v_add_co_u32_e32 v5, vcc, v5, v6
	v_mul_hi_u32 v7, v2, v3
	v_addc_co_u32_e32 v4, vcc, v4, v8, vcc
	v_addc_co_u32_e32 v5, vcc, 0, v7, vcc
	v_mul_lo_u32 v3, v2, v3
	v_add_co_u32_e32 v3, vcc, v4, v3
	v_addc_co_u32_e32 v4, vcc, 0, v5, vcc
	v_add_co_u32_e32 v1, vcc, v1, v3
	v_addc_co_u32_e32 v2, vcc, v2, v4, vcc
	v_mul_lo_u32 v3, s0, v2
	v_mul_hi_u32 v4, s0, v1
	v_add_u32_e32 v3, v4, v3
	v_mul_lo_u32 v4, s1, v1
	v_add_u32_e32 v3, v3, v4
	v_mul_lo_u32 v5, s0, v1
	v_mul_hi_u32 v6, v2, v5
	v_mul_lo_u32 v7, v2, v5
	v_mul_lo_u32 v9, v1, v3
	v_mul_hi_u32 v5, v1, v5
	v_mul_hi_u32 v8, v1, v3
	v_add_co_u32_e32 v5, vcc, v5, v9
	v_addc_co_u32_e32 v8, vcc, 0, v8, vcc
	v_add_co_u32_e32 v5, vcc, v5, v7
	v_mul_hi_u32 v4, v2, v3
	v_addc_co_u32_e32 v5, vcc, v8, v6, vcc
	v_addc_co_u32_e32 v4, vcc, 0, v4, vcc
	v_mul_lo_u32 v3, v2, v3
	v_add_co_u32_e32 v3, vcc, v5, v3
	v_addc_co_u32_e32 v4, vcc, 0, v4, vcc
	v_add_co_u32_e32 v1, vcc, v1, v3
	v_addc_co_u32_e32 v4, vcc, v2, v4, vcc
	v_ashrrev_i32_e64 v6, 31, 0
	v_add_co_u32_e32 v2, vcc, v0, v6
	v_addc_co_u32_e32 v3, vcc, 0, v6, vcc
	v_xor_b32_e32 v8, v2, v6
	v_xor_b32_e32 v7, v3, v6
	v_mad_u64_u32 v[2:3], s[0:1], v8, v4, 0
	v_mul_hi_u32 v5, v8, v1
	v_add_co_u32_e32 v9, vcc, v5, v2
	v_addc_co_u32_e32 v10, vcc, 0, v3, vcc
	v_mad_u64_u32 v[2:3], s[0:1], v7, v4, 0
	v_mad_u64_u32 v[4:5], s[0:1], v7, v1, 0
	v_add_co_u32_e32 v1, vcc, v9, v4
	v_addc_co_u32_e32 v1, vcc, v10, v5, vcc
	v_addc_co_u32_e32 v3, vcc, 0, v3, vcc
	v_add_co_u32_e32 v1, vcc, v1, v2
	v_addc_co_u32_e32 v4, vcc, 0, v3, vcc
	v_mul_lo_u32 v5, s29, v1
	v_mul_lo_u32 v9, s28, v4
	v_mad_u64_u32 v[2:3], s[0:1], s28, v1, 0
	v_add3_u32 v3, v3, v9, v5
	v_sub_u32_e32 v5, v7, v3
	v_mov_b32_e32 v9, s29
	v_sub_co_u32_e32 v2, vcc, v8, v2
	v_subb_co_u32_e64 v5, s[0:1], v5, v9, vcc
	v_subrev_co_u32_e64 v8, s[0:1], s28, v2
	v_subbrev_co_u32_e64 v5, s[0:1], 0, v5, s[0:1]
	v_cmp_le_u32_e64 s[0:1], s29, v5
	v_cndmask_b32_e64 v9, 0, -1, s[0:1]
	v_cmp_le_u32_e64 s[0:1], s28, v8
	v_cndmask_b32_e64 v8, 0, -1, s[0:1]
	v_cmp_eq_u32_e64 s[0:1], s29, v5
	v_cndmask_b32_e64 v5, v9, v8, s[0:1]
	v_add_co_u32_e64 v8, s[0:1], 2, v1
	v_subb_co_u32_e32 v3, vcc, v7, v3, vcc
	v_addc_co_u32_e64 v9, s[0:1], 0, v4, s[0:1]
	v_cmp_le_u32_e32 vcc, s29, v3
	v_add_co_u32_e64 v10, s[0:1], 1, v1
	v_cndmask_b32_e64 v7, 0, -1, vcc
	v_cmp_le_u32_e32 vcc, s28, v2
	v_addc_co_u32_e64 v11, s[0:1], 0, v4, s[0:1]
	v_cndmask_b32_e64 v2, 0, -1, vcc
	v_cmp_eq_u32_e32 vcc, s29, v3
	v_cmp_ne_u32_e64 s[0:1], 0, v5
	v_cndmask_b32_e32 v2, v7, v2, vcc
	v_cmp_ne_u32_e32 vcc, 0, v2
	v_cndmask_b32_e64 v3, v10, v8, s[0:1]
	v_cndmask_b32_e64 v5, v11, v9, s[0:1]
	v_cndmask_b32_e32 v1, v1, v3, vcc
	v_xor_b32_e32 v3, s26, v6
	v_cndmask_b32_e32 v2, v4, v5, vcc
	v_xor_b32_e32 v1, v1, v3
	v_xor_b32_e32 v4, v2, v3
	v_sub_co_u32_e32 v2, vcc, v1, v3
	v_subb_co_u32_e32 v3, vcc, v4, v3, vcc
	s_cbranch_execnz .LBB7_4
.LBB7_3:
	v_cvt_f32_u32_e32 v1, s6
	s_sub_i32 s0, 0, s6
	v_rcp_iflag_f32_e32 v1, v1
	v_mul_f32_e32 v1, 0x4f7ffffe, v1
	v_cvt_u32_f32_e32 v1, v1
	v_mul_lo_u32 v2, s0, v1
	v_mul_hi_u32 v2, v1, v2
	v_add_u32_e32 v1, v1, v2
	v_mul_hi_u32 v1, v0, v1
	v_mul_lo_u32 v2, v1, s6
	v_sub_u32_e32 v2, v0, v2
	v_add_u32_e32 v3, 1, v1
	v_subrev_u32_e32 v4, s6, v2
	v_cmp_le_u32_e32 vcc, s6, v2
	v_cndmask_b32_e32 v2, v2, v4, vcc
	v_cndmask_b32_e32 v1, v1, v3, vcc
	v_add_u32_e32 v3, 1, v1
	v_cmp_le_u32_e32 vcc, s6, v2
	v_cndmask_b32_e32 v2, v1, v3, vcc
	v_mov_b32_e32 v3, 0
.LBB7_4:
	s_sub_u32 s0, 0, s24
	s_subb_u32 s1, 0, s25
	s_sub_u32 s4, 0, s10
	s_subb_u32 s5, 0, s11
	s_waitcnt lgkmcnt(0)
	s_add_i32 s2, s7, s20
	s_add_i32 s7, s8, s21
	s_mul_i32 s7, s7, s22
	s_add_i32 s2, s2, s7
	s_mul_i32 s7, s2, s19
	s_mul_hi_u32 s8, s2, s18
	s_add_i32 s8, s8, s7
	s_mul_i32 s7, s2, s18
	v_mul_lo_u32 v1, v3, s6
	v_mul_lo_u32 v6, v2, s3
	v_mad_u64_u32 v[4:5], s[18:19], v2, s6, 0
	v_add3_u32 v1, v5, v6, v1
	v_sub_co_u32_e32 v0, vcc, v0, v4
	v_subb_co_u32_e32 v1, vcc, 0, v1, vcc
	v_mov_b32_e32 v5, s11
	v_subrev_co_u32_e32 v4, vcc, s10, v0
	v_subb_co_u32_e32 v5, vcc, v1, v5, vcc
	v_ashrrev_i32_e32 v6, 31, v5
	v_xor_b32_e32 v4, v4, v6
	v_xor_b32_e32 v5, v5, v6
	v_sub_co_u32_e32 v4, vcc, v4, v6
	v_subb_co_u32_e32 v5, vcc, v5, v6, vcc
	v_mov_b32_e32 v6, s33
	v_subrev_co_u32_e32 v7, vcc, s31, v0
	v_subb_co_u32_e32 v6, vcc, v1, v6, vcc
	v_add_co_u32_e32 v7, vcc, 1, v7
	v_addc_co_u32_e32 v6, vcc, 0, v6, vcc
	v_ashrrev_i32_e32 v8, 31, v6
	v_xor_b32_e32 v7, v7, v8
	v_xor_b32_e32 v6, v6, v8
	v_sub_co_u32_e32 v9, vcc, v7, v8
	v_cmp_gt_i64_e64 s[18:19], s[4:5], 0
	v_subb_co_u32_e32 v8, vcc, v6, v8, vcc
	s_and_b64 s[18:19], s[18:19], exec
	v_mov_b32_e32 v6, s25
	v_subrev_co_u32_e32 v7, vcc, s24, v2
	s_cselect_b32 s18, s5, 0
	s_cselect_b32 s19, s4, 0
	v_cmp_gt_i64_e64 s[4:5], s[0:1], 0
	v_subb_co_u32_e32 v6, vcc, v3, v6, vcc
	s_and_b64 s[4:5], s[4:5], exec
	v_ashrrev_i32_e32 v10, 31, v6
	s_cselect_b32 s20, s1, 0
	s_cselect_b32 s21, s0, 0
	v_cmp_gt_i64_e64 s[0:1], s[10:11], 0
	v_xor_b32_e32 v7, v7, v10
	s_and_b64 s[0:1], s[0:1], exec
	v_cmp_gt_i64_e64 s[4:5], s[24:25], 0
	v_xor_b32_e32 v6, v6, v10
	v_sub_co_u32_e32 v7, vcc, v7, v10
	s_cselect_b32 s1, s11, 0
	s_cselect_b32 s0, s10, 0
	s_and_b64 s[4:5], s[4:5], exec
	v_subb_co_u32_e32 v6, vcc, v6, v10, vcc
	s_cselect_b32 s5, s25, 0
	s_cselect_b32 s4, s24, 0
	v_mov_b32_e32 v10, s35
	v_subrev_co_u32_e32 v11, vcc, s34, v2
	s_not_b64 s[0:1], s[0:1]
	v_subb_co_u32_e32 v10, vcc, v3, v10, vcc
	s_not_b64 s[4:5], s[4:5]
	v_add_co_u32_e32 v11, vcc, 1, v11
	s_add_u32 s22, s34, s24
	v_addc_co_u32_e32 v10, vcc, 0, v10, vcc
	s_addc_u32 s23, s35, s25
	v_ashrrev_i32_e32 v12, 31, v10
	s_add_u32 s4, s22, s4
	v_xor_b32_e32 v11, v11, v12
	s_addc_u32 s5, s23, s5
	v_xor_b32_e32 v10, v10, v12
	v_sub_co_u32_e32 v11, vcc, v11, v12
	s_add_u32 s4, s4, s21
	v_subb_co_u32_e32 v10, vcc, v10, v12, vcc
	s_addc_u32 s5, s5, s20
	s_add_u32 s4, s4, s7
	v_add_co_u32_e32 v11, vcc, v2, v11
	s_addc_u32 s5, s5, s8
	v_addc_co_u32_e32 v10, vcc, v3, v10, vcc
	v_mov_b32_e32 v12, s5
	v_sub_co_u32_e32 v11, vcc, s4, v11
	v_subb_co_u32_e32 v10, vcc, v12, v10, vcc
	v_add_co_u32_e32 v7, vcc, v11, v7
	v_addc_co_u32_e32 v6, vcc, v10, v6, vcc
	v_mul_lo_u32 v10, v6, s16
	v_mul_lo_u32 v11, v7, s17
	v_mad_u64_u32 v[6:7], s[4:5], v7, s16, 0
	s_add_u32 s4, s31, s10
	s_addc_u32 s5, s33, s11
	s_add_u32 s0, s4, s0
	s_addc_u32 s1, s5, s1
	s_add_u32 s0, s0, s19
	v_add_co_u32_e32 v9, vcc, v0, v9
	v_add3_u32 v7, v7, v11, v10
	s_addc_u32 s1, s1, s18
	v_addc_co_u32_e32 v10, vcc, v1, v8, vcc
	v_mov_b32_e32 v11, s1
	v_sub_co_u32_e32 v8, vcc, s0, v9
	v_subb_co_u32_e32 v9, vcc, v11, v10, vcc
	v_lshlrev_b64 v[8:9], 4, v[8:9]
	v_mov_b32_e32 v10, s13
	v_add_co_u32_e32 v8, vcc, s12, v8
	v_addc_co_u32_e32 v9, vcc, v10, v9, vcc
	v_lshlrev_b64 v[4:5], 4, v[4:5]
	v_add_co_u32_e32 v8, vcc, v8, v4
	v_addc_co_u32_e32 v9, vcc, v9, v5, vcc
	v_lshlrev_b64 v[4:5], 4, v[6:7]
	v_add_co_u32_e32 v4, vcc, v8, v4
	v_addc_co_u32_e32 v5, vcc, v9, v5, vcc
	global_load_dwordx4 v[4:7], v[4:5], off
	v_mov_b32_e32 v8, s2
	s_mul_i32 s30, s30, s2
	v_mad_u64_u32 v[2:3], s[0:1], s9, v8, v[2:3]
	v_add_u32_e32 v3, s30, v3
	v_mul_lo_u32 v8, v3, s6
	v_mul_lo_u32 v9, v2, s3
	v_mad_u64_u32 v[2:3], s[0:1], v2, s6, 0
	v_add3_u32 v3, v3, v9, v8
	v_lshlrev_b64 v[2:3], 4, v[2:3]
	v_mov_b32_e32 v8, s15
	v_add_co_u32_e32 v2, vcc, s14, v2
	v_addc_co_u32_e32 v3, vcc, v8, v3, vcc
	v_lshlrev_b64 v[0:1], 4, v[0:1]
	v_add_co_u32_e32 v0, vcc, v2, v0
	v_addc_co_u32_e32 v1, vcc, v3, v1, vcc
	s_waitcnt vmcnt(0)
	global_store_dwordx4 v[0:1], v[4:7], off
.LBB7_5:
	s_endpgm
.LBB7_6:
                                        ; implicit-def: $vgpr2_vgpr3
	s_branch .LBB7_3
	.section	.rodata,"a",@progbits
	.p2align	6, 0x0
	.amdhsa_kernel _ZN2at6native12_GLOBAL__N_127reflection_pad2d_out_kernelIN3c107complexIdEEEEvPKT_PS6_lliiiiiii
		.amdhsa_group_segment_fixed_size 0
		.amdhsa_private_segment_fixed_size 0
		.amdhsa_kernarg_size 320
		.amdhsa_user_sgpr_count 6
		.amdhsa_user_sgpr_private_segment_buffer 1
		.amdhsa_user_sgpr_dispatch_ptr 0
		.amdhsa_user_sgpr_queue_ptr 0
		.amdhsa_user_sgpr_kernarg_segment_ptr 1
		.amdhsa_user_sgpr_dispatch_id 0
		.amdhsa_user_sgpr_flat_scratch_init 0
		.amdhsa_user_sgpr_kernarg_preload_length 0
		.amdhsa_user_sgpr_kernarg_preload_offset 0
		.amdhsa_user_sgpr_private_segment_size 0
		.amdhsa_uses_dynamic_stack 0
		.amdhsa_system_sgpr_private_segment_wavefront_offset 0
		.amdhsa_system_sgpr_workgroup_id_x 1
		.amdhsa_system_sgpr_workgroup_id_y 1
		.amdhsa_system_sgpr_workgroup_id_z 1
		.amdhsa_system_sgpr_workgroup_info 0
		.amdhsa_system_vgpr_workitem_id 0
		.amdhsa_next_free_vgpr 13
		.amdhsa_next_free_sgpr 36
		.amdhsa_accum_offset 16
		.amdhsa_reserve_vcc 1
		.amdhsa_reserve_flat_scratch 0
		.amdhsa_float_round_mode_32 0
		.amdhsa_float_round_mode_16_64 0
		.amdhsa_float_denorm_mode_32 3
		.amdhsa_float_denorm_mode_16_64 3
		.amdhsa_dx10_clamp 1
		.amdhsa_ieee_mode 1
		.amdhsa_fp16_overflow 0
		.amdhsa_tg_split 0
		.amdhsa_exception_fp_ieee_invalid_op 0
		.amdhsa_exception_fp_denorm_src 0
		.amdhsa_exception_fp_ieee_div_zero 0
		.amdhsa_exception_fp_ieee_overflow 0
		.amdhsa_exception_fp_ieee_underflow 0
		.amdhsa_exception_fp_ieee_inexact 0
		.amdhsa_exception_int_div_zero 0
	.end_amdhsa_kernel
	.section	.text._ZN2at6native12_GLOBAL__N_127reflection_pad2d_out_kernelIN3c107complexIdEEEEvPKT_PS6_lliiiiiii,"axG",@progbits,_ZN2at6native12_GLOBAL__N_127reflection_pad2d_out_kernelIN3c107complexIdEEEEvPKT_PS6_lliiiiiii,comdat
.Lfunc_end7:
	.size	_ZN2at6native12_GLOBAL__N_127reflection_pad2d_out_kernelIN3c107complexIdEEEEvPKT_PS6_lliiiiiii, .Lfunc_end7-_ZN2at6native12_GLOBAL__N_127reflection_pad2d_out_kernelIN3c107complexIdEEEEvPKT_PS6_lliiiiiii
                                        ; -- End function
	.section	.AMDGPU.csdata,"",@progbits
; Kernel info:
; codeLenInByte = 1572
; NumSgprs: 40
; NumVgprs: 13
; NumAgprs: 0
; TotalNumVgprs: 13
; ScratchSize: 0
; MemoryBound: 0
; FloatMode: 240
; IeeeMode: 1
; LDSByteSize: 0 bytes/workgroup (compile time only)
; SGPRBlocks: 4
; VGPRBlocks: 1
; NumSGPRsForWavesPerEU: 40
; NumVGPRsForWavesPerEU: 13
; AccumOffset: 16
; Occupancy: 8
; WaveLimiterHint : 0
; COMPUTE_PGM_RSRC2:SCRATCH_EN: 0
; COMPUTE_PGM_RSRC2:USER_SGPR: 6
; COMPUTE_PGM_RSRC2:TRAP_HANDLER: 0
; COMPUTE_PGM_RSRC2:TGID_X_EN: 1
; COMPUTE_PGM_RSRC2:TGID_Y_EN: 1
; COMPUTE_PGM_RSRC2:TGID_Z_EN: 1
; COMPUTE_PGM_RSRC2:TIDIG_COMP_CNT: 0
; COMPUTE_PGM_RSRC3_GFX90A:ACCUM_OFFSET: 3
; COMPUTE_PGM_RSRC3_GFX90A:TG_SPLIT: 0
	.section	.text._ZN2at6native12_GLOBAL__N_127reflection_pad2d_out_kernelIN3c107complexIfEEEEvPKT_PS6_lliiiiiii,"axG",@progbits,_ZN2at6native12_GLOBAL__N_127reflection_pad2d_out_kernelIN3c107complexIfEEEEvPKT_PS6_lliiiiiii,comdat
	.globl	_ZN2at6native12_GLOBAL__N_127reflection_pad2d_out_kernelIN3c107complexIfEEEEvPKT_PS6_lliiiiiii ; -- Begin function _ZN2at6native12_GLOBAL__N_127reflection_pad2d_out_kernelIN3c107complexIfEEEEvPKT_PS6_lliiiiiii
	.p2align	8
	.type	_ZN2at6native12_GLOBAL__N_127reflection_pad2d_out_kernelIN3c107complexIfEEEEvPKT_PS6_lliiiiiii,@function
_ZN2at6native12_GLOBAL__N_127reflection_pad2d_out_kernelIN3c107complexIfEEEEvPKT_PS6_lliiiiiii: ; @_ZN2at6native12_GLOBAL__N_127reflection_pad2d_out_kernelIN3c107complexIfEEEEvPKT_PS6_lliiiiiii
; %bb.0:
	s_load_dword s9, s[4:5], 0x4c
	s_load_dwordx4 s[0:3], s[4:5], 0x20
	s_load_dwordx8 s[12:19], s[4:5], 0x0
	v_mov_b32_e32 v1, 0
	s_waitcnt lgkmcnt(0)
	s_and_b32 s9, s9, 0xffff
	s_ashr_i32 s11, s2, 31
	s_add_u32 s31, s2, s16
	s_mul_i32 s6, s6, s9
	s_mov_b32 s10, s2
	s_addc_u32 s33, s11, s17
	s_ashr_i32 s2, s3, 31
	v_add_u32_e32 v0, s6, v0
	s_add_u32 s6, s31, s3
	s_addc_u32 s3, s33, s2
	s_ashr_i32 s25, s0, 31
	s_add_u32 s34, s0, s18
	s_mov_b32 s24, s0
	s_addc_u32 s35, s25, s19
	s_ashr_i32 s0, s1, 31
	s_add_u32 s9, s34, s1
	s_addc_u32 s30, s35, s0
	s_mul_i32 s0, s6, s30
	s_mul_hi_u32 s1, s6, s9
	s_add_i32 s0, s1, s0
	s_mul_i32 s1, s3, s9
	s_add_i32 s1, s0, s1
	s_mul_i32 s0, s6, s9
	v_cmp_gt_i64_e32 vcc, s[0:1], v[0:1]
	s_and_saveexec_b64 s[0:1], vcc
	s_cbranch_execz .LBB8_5
; %bb.1:
	s_load_dwordx4 s[20:23], s[4:5], 0x30
	s_mov_b32 s2, 0
	s_cmp_lg_u64 s[2:3], 0
	s_cbranch_scc0 .LBB8_6
; %bb.2:
	s_ashr_i32 s26, s3, 31
	s_add_u32 s0, s6, s26
	s_mov_b32 s27, s26
	s_addc_u32 s1, s3, s26
	s_xor_b64 s[28:29], s[0:1], s[26:27]
	v_cvt_f32_u32_e32 v1, s28
	v_cvt_f32_u32_e32 v2, s29
	s_sub_u32 s0, 0, s28
	s_subb_u32 s1, 0, s29
	v_madmk_f32 v1, v2, 0x4f800000, v1
	v_rcp_f32_e32 v1, v1
	v_mul_f32_e32 v1, 0x5f7ffffc, v1
	v_mul_f32_e32 v2, 0x2f800000, v1
	v_trunc_f32_e32 v2, v2
	v_madmk_f32 v1, v2, 0xcf800000, v1
	v_cvt_u32_f32_e32 v2, v2
	v_cvt_u32_f32_e32 v1, v1
	v_mul_lo_u32 v3, s0, v2
	v_mul_hi_u32 v5, s0, v1
	v_mul_lo_u32 v4, s1, v1
	v_add_u32_e32 v3, v5, v3
	v_add_u32_e32 v3, v3, v4
	v_mul_lo_u32 v6, s0, v1
	v_mul_lo_u32 v5, v1, v3
	v_mul_hi_u32 v7, v1, v6
	v_mul_hi_u32 v4, v1, v3
	v_add_co_u32_e32 v5, vcc, v7, v5
	v_addc_co_u32_e32 v4, vcc, 0, v4, vcc
	v_mul_hi_u32 v8, v2, v6
	v_mul_lo_u32 v6, v2, v6
	v_add_co_u32_e32 v5, vcc, v5, v6
	v_mul_hi_u32 v7, v2, v3
	v_addc_co_u32_e32 v4, vcc, v4, v8, vcc
	v_addc_co_u32_e32 v5, vcc, 0, v7, vcc
	v_mul_lo_u32 v3, v2, v3
	v_add_co_u32_e32 v3, vcc, v4, v3
	v_addc_co_u32_e32 v4, vcc, 0, v5, vcc
	v_add_co_u32_e32 v1, vcc, v1, v3
	v_addc_co_u32_e32 v2, vcc, v2, v4, vcc
	v_mul_lo_u32 v3, s0, v2
	v_mul_hi_u32 v4, s0, v1
	v_add_u32_e32 v3, v4, v3
	v_mul_lo_u32 v4, s1, v1
	v_add_u32_e32 v3, v3, v4
	v_mul_lo_u32 v5, s0, v1
	v_mul_hi_u32 v6, v2, v5
	v_mul_lo_u32 v7, v2, v5
	v_mul_lo_u32 v9, v1, v3
	v_mul_hi_u32 v5, v1, v5
	v_mul_hi_u32 v8, v1, v3
	v_add_co_u32_e32 v5, vcc, v5, v9
	v_addc_co_u32_e32 v8, vcc, 0, v8, vcc
	v_add_co_u32_e32 v5, vcc, v5, v7
	v_mul_hi_u32 v4, v2, v3
	v_addc_co_u32_e32 v5, vcc, v8, v6, vcc
	v_addc_co_u32_e32 v4, vcc, 0, v4, vcc
	v_mul_lo_u32 v3, v2, v3
	v_add_co_u32_e32 v3, vcc, v5, v3
	v_addc_co_u32_e32 v4, vcc, 0, v4, vcc
	v_add_co_u32_e32 v1, vcc, v1, v3
	v_addc_co_u32_e32 v4, vcc, v2, v4, vcc
	v_ashrrev_i32_e64 v6, 31, 0
	v_add_co_u32_e32 v2, vcc, v0, v6
	v_addc_co_u32_e32 v3, vcc, 0, v6, vcc
	v_xor_b32_e32 v8, v2, v6
	v_xor_b32_e32 v7, v3, v6
	v_mad_u64_u32 v[2:3], s[0:1], v8, v4, 0
	v_mul_hi_u32 v5, v8, v1
	v_add_co_u32_e32 v9, vcc, v5, v2
	v_addc_co_u32_e32 v10, vcc, 0, v3, vcc
	v_mad_u64_u32 v[2:3], s[0:1], v7, v4, 0
	v_mad_u64_u32 v[4:5], s[0:1], v7, v1, 0
	v_add_co_u32_e32 v1, vcc, v9, v4
	v_addc_co_u32_e32 v1, vcc, v10, v5, vcc
	v_addc_co_u32_e32 v3, vcc, 0, v3, vcc
	v_add_co_u32_e32 v1, vcc, v1, v2
	v_addc_co_u32_e32 v4, vcc, 0, v3, vcc
	v_mul_lo_u32 v5, s29, v1
	v_mul_lo_u32 v9, s28, v4
	v_mad_u64_u32 v[2:3], s[0:1], s28, v1, 0
	v_add3_u32 v3, v3, v9, v5
	v_sub_u32_e32 v5, v7, v3
	v_mov_b32_e32 v9, s29
	v_sub_co_u32_e32 v2, vcc, v8, v2
	v_subb_co_u32_e64 v5, s[0:1], v5, v9, vcc
	v_subrev_co_u32_e64 v8, s[0:1], s28, v2
	v_subbrev_co_u32_e64 v5, s[0:1], 0, v5, s[0:1]
	v_cmp_le_u32_e64 s[0:1], s29, v5
	v_cndmask_b32_e64 v9, 0, -1, s[0:1]
	v_cmp_le_u32_e64 s[0:1], s28, v8
	v_cndmask_b32_e64 v8, 0, -1, s[0:1]
	v_cmp_eq_u32_e64 s[0:1], s29, v5
	v_cndmask_b32_e64 v5, v9, v8, s[0:1]
	v_add_co_u32_e64 v8, s[0:1], 2, v1
	v_subb_co_u32_e32 v3, vcc, v7, v3, vcc
	v_addc_co_u32_e64 v9, s[0:1], 0, v4, s[0:1]
	v_cmp_le_u32_e32 vcc, s29, v3
	v_add_co_u32_e64 v10, s[0:1], 1, v1
	v_cndmask_b32_e64 v7, 0, -1, vcc
	v_cmp_le_u32_e32 vcc, s28, v2
	v_addc_co_u32_e64 v11, s[0:1], 0, v4, s[0:1]
	v_cndmask_b32_e64 v2, 0, -1, vcc
	v_cmp_eq_u32_e32 vcc, s29, v3
	v_cmp_ne_u32_e64 s[0:1], 0, v5
	v_cndmask_b32_e32 v2, v7, v2, vcc
	v_cmp_ne_u32_e32 vcc, 0, v2
	v_cndmask_b32_e64 v3, v10, v8, s[0:1]
	v_cndmask_b32_e64 v5, v11, v9, s[0:1]
	v_cndmask_b32_e32 v1, v1, v3, vcc
	v_xor_b32_e32 v3, s26, v6
	v_cndmask_b32_e32 v2, v4, v5, vcc
	v_xor_b32_e32 v1, v1, v3
	v_xor_b32_e32 v4, v2, v3
	v_sub_co_u32_e32 v2, vcc, v1, v3
	v_subb_co_u32_e32 v3, vcc, v4, v3, vcc
	s_cbranch_execnz .LBB8_4
.LBB8_3:
	v_cvt_f32_u32_e32 v1, s6
	s_sub_i32 s0, 0, s6
	v_rcp_iflag_f32_e32 v1, v1
	v_mul_f32_e32 v1, 0x4f7ffffe, v1
	v_cvt_u32_f32_e32 v1, v1
	v_mul_lo_u32 v2, s0, v1
	v_mul_hi_u32 v2, v1, v2
	v_add_u32_e32 v1, v1, v2
	v_mul_hi_u32 v1, v0, v1
	v_mul_lo_u32 v2, v1, s6
	v_sub_u32_e32 v2, v0, v2
	v_add_u32_e32 v3, 1, v1
	v_subrev_u32_e32 v4, s6, v2
	v_cmp_le_u32_e32 vcc, s6, v2
	v_cndmask_b32_e32 v2, v2, v4, vcc
	v_cndmask_b32_e32 v1, v1, v3, vcc
	v_add_u32_e32 v3, 1, v1
	v_cmp_le_u32_e32 vcc, s6, v2
	v_cndmask_b32_e32 v2, v1, v3, vcc
	v_mov_b32_e32 v3, 0
.LBB8_4:
	s_sub_u32 s0, 0, s24
	s_subb_u32 s1, 0, s25
	s_sub_u32 s4, 0, s10
	s_subb_u32 s5, 0, s11
	s_waitcnt lgkmcnt(0)
	s_add_i32 s2, s7, s20
	s_add_i32 s7, s8, s21
	s_mul_i32 s7, s7, s22
	s_add_i32 s2, s2, s7
	s_mul_i32 s7, s2, s19
	s_mul_hi_u32 s8, s2, s18
	s_add_i32 s8, s8, s7
	s_mul_i32 s7, s2, s18
	v_mul_lo_u32 v1, v3, s6
	v_mul_lo_u32 v6, v2, s3
	v_mad_u64_u32 v[4:5], s[18:19], v2, s6, 0
	v_add3_u32 v1, v5, v6, v1
	v_sub_co_u32_e32 v0, vcc, v0, v4
	v_subb_co_u32_e32 v1, vcc, 0, v1, vcc
	v_mov_b32_e32 v5, s11
	v_subrev_co_u32_e32 v4, vcc, s10, v0
	v_subb_co_u32_e32 v5, vcc, v1, v5, vcc
	v_ashrrev_i32_e32 v6, 31, v5
	v_xor_b32_e32 v4, v4, v6
	v_xor_b32_e32 v5, v5, v6
	v_sub_co_u32_e32 v4, vcc, v4, v6
	v_subb_co_u32_e32 v5, vcc, v5, v6, vcc
	v_mov_b32_e32 v6, s33
	v_subrev_co_u32_e32 v7, vcc, s31, v0
	v_subb_co_u32_e32 v6, vcc, v1, v6, vcc
	v_add_co_u32_e32 v7, vcc, 1, v7
	v_addc_co_u32_e32 v6, vcc, 0, v6, vcc
	v_ashrrev_i32_e32 v8, 31, v6
	v_xor_b32_e32 v7, v7, v8
	v_xor_b32_e32 v6, v6, v8
	v_sub_co_u32_e32 v9, vcc, v7, v8
	v_cmp_gt_i64_e64 s[18:19], s[4:5], 0
	v_subb_co_u32_e32 v8, vcc, v6, v8, vcc
	s_and_b64 s[18:19], s[18:19], exec
	v_mov_b32_e32 v6, s25
	v_subrev_co_u32_e32 v7, vcc, s24, v2
	s_cselect_b32 s18, s5, 0
	s_cselect_b32 s19, s4, 0
	v_cmp_gt_i64_e64 s[4:5], s[0:1], 0
	v_subb_co_u32_e32 v6, vcc, v3, v6, vcc
	s_and_b64 s[4:5], s[4:5], exec
	v_ashrrev_i32_e32 v10, 31, v6
	s_cselect_b32 s20, s1, 0
	s_cselect_b32 s21, s0, 0
	v_cmp_gt_i64_e64 s[0:1], s[10:11], 0
	v_xor_b32_e32 v7, v7, v10
	s_and_b64 s[0:1], s[0:1], exec
	v_cmp_gt_i64_e64 s[4:5], s[24:25], 0
	v_xor_b32_e32 v6, v6, v10
	v_sub_co_u32_e32 v7, vcc, v7, v10
	s_cselect_b32 s1, s11, 0
	s_cselect_b32 s0, s10, 0
	s_and_b64 s[4:5], s[4:5], exec
	v_subb_co_u32_e32 v6, vcc, v6, v10, vcc
	s_cselect_b32 s5, s25, 0
	s_cselect_b32 s4, s24, 0
	v_mov_b32_e32 v10, s35
	v_subrev_co_u32_e32 v11, vcc, s34, v2
	s_not_b64 s[0:1], s[0:1]
	v_subb_co_u32_e32 v10, vcc, v3, v10, vcc
	s_not_b64 s[4:5], s[4:5]
	v_add_co_u32_e32 v11, vcc, 1, v11
	s_add_u32 s22, s34, s24
	v_addc_co_u32_e32 v10, vcc, 0, v10, vcc
	s_addc_u32 s23, s35, s25
	v_ashrrev_i32_e32 v12, 31, v10
	s_add_u32 s4, s22, s4
	v_xor_b32_e32 v11, v11, v12
	s_addc_u32 s5, s23, s5
	v_xor_b32_e32 v10, v10, v12
	v_sub_co_u32_e32 v11, vcc, v11, v12
	s_add_u32 s4, s4, s21
	v_subb_co_u32_e32 v10, vcc, v10, v12, vcc
	s_addc_u32 s5, s5, s20
	s_add_u32 s4, s4, s7
	v_add_co_u32_e32 v11, vcc, v2, v11
	s_addc_u32 s5, s5, s8
	v_addc_co_u32_e32 v10, vcc, v3, v10, vcc
	v_mov_b32_e32 v12, s5
	v_sub_co_u32_e32 v11, vcc, s4, v11
	v_subb_co_u32_e32 v10, vcc, v12, v10, vcc
	v_add_co_u32_e32 v7, vcc, v11, v7
	v_addc_co_u32_e32 v6, vcc, v10, v6, vcc
	v_mul_lo_u32 v10, v6, s16
	v_mul_lo_u32 v11, v7, s17
	v_mad_u64_u32 v[6:7], s[4:5], v7, s16, 0
	s_add_u32 s4, s31, s10
	s_addc_u32 s5, s33, s11
	s_add_u32 s0, s4, s0
	s_addc_u32 s1, s5, s1
	s_add_u32 s0, s0, s19
	v_add_co_u32_e32 v9, vcc, v0, v9
	v_add3_u32 v7, v7, v11, v10
	s_addc_u32 s1, s1, s18
	v_addc_co_u32_e32 v10, vcc, v1, v8, vcc
	v_mov_b32_e32 v11, s1
	v_sub_co_u32_e32 v8, vcc, s0, v9
	v_subb_co_u32_e32 v9, vcc, v11, v10, vcc
	v_lshlrev_b64 v[8:9], 3, v[8:9]
	v_mov_b32_e32 v10, s13
	v_add_co_u32_e32 v8, vcc, s12, v8
	v_addc_co_u32_e32 v9, vcc, v10, v9, vcc
	v_lshlrev_b64 v[4:5], 3, v[4:5]
	v_add_co_u32_e32 v8, vcc, v8, v4
	v_addc_co_u32_e32 v9, vcc, v9, v5, vcc
	v_lshlrev_b64 v[4:5], 3, v[6:7]
	v_add_co_u32_e32 v4, vcc, v8, v4
	v_addc_co_u32_e32 v5, vcc, v9, v5, vcc
	global_load_dwordx2 v[4:5], v[4:5], off
	v_mov_b32_e32 v6, s2
	s_mul_i32 s30, s30, s2
	v_mad_u64_u32 v[2:3], s[0:1], s9, v6, v[2:3]
	v_add_u32_e32 v3, s30, v3
	v_mul_lo_u32 v6, v3, s6
	v_mul_lo_u32 v7, v2, s3
	v_mad_u64_u32 v[2:3], s[0:1], v2, s6, 0
	v_add3_u32 v3, v3, v7, v6
	v_lshlrev_b64 v[2:3], 3, v[2:3]
	v_mov_b32_e32 v6, s15
	v_add_co_u32_e32 v2, vcc, s14, v2
	v_addc_co_u32_e32 v3, vcc, v6, v3, vcc
	v_lshlrev_b64 v[0:1], 3, v[0:1]
	v_add_co_u32_e32 v0, vcc, v2, v0
	v_addc_co_u32_e32 v1, vcc, v3, v1, vcc
	s_waitcnt vmcnt(0)
	global_store_dwordx2 v[0:1], v[4:5], off
.LBB8_5:
	s_endpgm
.LBB8_6:
                                        ; implicit-def: $vgpr2_vgpr3
	s_branch .LBB8_3
	.section	.rodata,"a",@progbits
	.p2align	6, 0x0
	.amdhsa_kernel _ZN2at6native12_GLOBAL__N_127reflection_pad2d_out_kernelIN3c107complexIfEEEEvPKT_PS6_lliiiiiii
		.amdhsa_group_segment_fixed_size 0
		.amdhsa_private_segment_fixed_size 0
		.amdhsa_kernarg_size 320
		.amdhsa_user_sgpr_count 6
		.amdhsa_user_sgpr_private_segment_buffer 1
		.amdhsa_user_sgpr_dispatch_ptr 0
		.amdhsa_user_sgpr_queue_ptr 0
		.amdhsa_user_sgpr_kernarg_segment_ptr 1
		.amdhsa_user_sgpr_dispatch_id 0
		.amdhsa_user_sgpr_flat_scratch_init 0
		.amdhsa_user_sgpr_kernarg_preload_length 0
		.amdhsa_user_sgpr_kernarg_preload_offset 0
		.amdhsa_user_sgpr_private_segment_size 0
		.amdhsa_uses_dynamic_stack 0
		.amdhsa_system_sgpr_private_segment_wavefront_offset 0
		.amdhsa_system_sgpr_workgroup_id_x 1
		.amdhsa_system_sgpr_workgroup_id_y 1
		.amdhsa_system_sgpr_workgroup_id_z 1
		.amdhsa_system_sgpr_workgroup_info 0
		.amdhsa_system_vgpr_workitem_id 0
		.amdhsa_next_free_vgpr 13
		.amdhsa_next_free_sgpr 36
		.amdhsa_accum_offset 16
		.amdhsa_reserve_vcc 1
		.amdhsa_reserve_flat_scratch 0
		.amdhsa_float_round_mode_32 0
		.amdhsa_float_round_mode_16_64 0
		.amdhsa_float_denorm_mode_32 3
		.amdhsa_float_denorm_mode_16_64 3
		.amdhsa_dx10_clamp 1
		.amdhsa_ieee_mode 1
		.amdhsa_fp16_overflow 0
		.amdhsa_tg_split 0
		.amdhsa_exception_fp_ieee_invalid_op 0
		.amdhsa_exception_fp_denorm_src 0
		.amdhsa_exception_fp_ieee_div_zero 0
		.amdhsa_exception_fp_ieee_overflow 0
		.amdhsa_exception_fp_ieee_underflow 0
		.amdhsa_exception_fp_ieee_inexact 0
		.amdhsa_exception_int_div_zero 0
	.end_amdhsa_kernel
	.section	.text._ZN2at6native12_GLOBAL__N_127reflection_pad2d_out_kernelIN3c107complexIfEEEEvPKT_PS6_lliiiiiii,"axG",@progbits,_ZN2at6native12_GLOBAL__N_127reflection_pad2d_out_kernelIN3c107complexIfEEEEvPKT_PS6_lliiiiiii,comdat
.Lfunc_end8:
	.size	_ZN2at6native12_GLOBAL__N_127reflection_pad2d_out_kernelIN3c107complexIfEEEEvPKT_PS6_lliiiiiii, .Lfunc_end8-_ZN2at6native12_GLOBAL__N_127reflection_pad2d_out_kernelIN3c107complexIfEEEEvPKT_PS6_lliiiiiii
                                        ; -- End function
	.section	.AMDGPU.csdata,"",@progbits
; Kernel info:
; codeLenInByte = 1572
; NumSgprs: 40
; NumVgprs: 13
; NumAgprs: 0
; TotalNumVgprs: 13
; ScratchSize: 0
; MemoryBound: 0
; FloatMode: 240
; IeeeMode: 1
; LDSByteSize: 0 bytes/workgroup (compile time only)
; SGPRBlocks: 4
; VGPRBlocks: 1
; NumSGPRsForWavesPerEU: 40
; NumVGPRsForWavesPerEU: 13
; AccumOffset: 16
; Occupancy: 8
; WaveLimiterHint : 0
; COMPUTE_PGM_RSRC2:SCRATCH_EN: 0
; COMPUTE_PGM_RSRC2:USER_SGPR: 6
; COMPUTE_PGM_RSRC2:TRAP_HANDLER: 0
; COMPUTE_PGM_RSRC2:TGID_X_EN: 1
; COMPUTE_PGM_RSRC2:TGID_Y_EN: 1
; COMPUTE_PGM_RSRC2:TGID_Z_EN: 1
; COMPUTE_PGM_RSRC2:TIDIG_COMP_CNT: 0
; COMPUTE_PGM_RSRC3_GFX90A:ACCUM_OFFSET: 3
; COMPUTE_PGM_RSRC3_GFX90A:TG_SPLIT: 0
	.section	.text._ZN2at6native12_GLOBAL__N_127reflection_pad2d_out_kernelIN3c104HalfEEEvPKT_PS5_lliiiiiii,"axG",@progbits,_ZN2at6native12_GLOBAL__N_127reflection_pad2d_out_kernelIN3c104HalfEEEvPKT_PS5_lliiiiiii,comdat
	.globl	_ZN2at6native12_GLOBAL__N_127reflection_pad2d_out_kernelIN3c104HalfEEEvPKT_PS5_lliiiiiii ; -- Begin function _ZN2at6native12_GLOBAL__N_127reflection_pad2d_out_kernelIN3c104HalfEEEvPKT_PS5_lliiiiiii
	.p2align	8
	.type	_ZN2at6native12_GLOBAL__N_127reflection_pad2d_out_kernelIN3c104HalfEEEvPKT_PS5_lliiiiiii,@function
_ZN2at6native12_GLOBAL__N_127reflection_pad2d_out_kernelIN3c104HalfEEEvPKT_PS5_lliiiiiii: ; @_ZN2at6native12_GLOBAL__N_127reflection_pad2d_out_kernelIN3c104HalfEEEvPKT_PS5_lliiiiiii
; %bb.0:
	s_load_dword s9, s[4:5], 0x4c
	s_load_dwordx4 s[0:3], s[4:5], 0x20
	s_load_dwordx8 s[12:19], s[4:5], 0x0
	v_mov_b32_e32 v1, 0
	s_waitcnt lgkmcnt(0)
	s_and_b32 s9, s9, 0xffff
	s_ashr_i32 s11, s2, 31
	s_add_u32 s31, s2, s16
	s_mul_i32 s6, s6, s9
	s_mov_b32 s10, s2
	s_addc_u32 s33, s11, s17
	s_ashr_i32 s2, s3, 31
	v_add_u32_e32 v0, s6, v0
	s_add_u32 s6, s31, s3
	s_addc_u32 s3, s33, s2
	s_ashr_i32 s25, s0, 31
	s_add_u32 s34, s0, s18
	s_mov_b32 s24, s0
	s_addc_u32 s35, s25, s19
	s_ashr_i32 s0, s1, 31
	s_add_u32 s9, s34, s1
	s_addc_u32 s30, s35, s0
	s_mul_i32 s0, s6, s30
	s_mul_hi_u32 s1, s6, s9
	s_add_i32 s0, s1, s0
	s_mul_i32 s1, s3, s9
	s_add_i32 s1, s0, s1
	s_mul_i32 s0, s6, s9
	v_cmp_gt_i64_e32 vcc, s[0:1], v[0:1]
	s_and_saveexec_b64 s[0:1], vcc
	s_cbranch_execz .LBB9_5
; %bb.1:
	s_load_dwordx4 s[20:23], s[4:5], 0x30
	s_mov_b32 s2, 0
	s_cmp_lg_u64 s[2:3], 0
	s_cbranch_scc0 .LBB9_6
; %bb.2:
	s_ashr_i32 s26, s3, 31
	s_add_u32 s0, s6, s26
	s_mov_b32 s27, s26
	s_addc_u32 s1, s3, s26
	s_xor_b64 s[28:29], s[0:1], s[26:27]
	v_cvt_f32_u32_e32 v1, s28
	v_cvt_f32_u32_e32 v2, s29
	s_sub_u32 s0, 0, s28
	s_subb_u32 s1, 0, s29
	v_madmk_f32 v1, v2, 0x4f800000, v1
	v_rcp_f32_e32 v1, v1
	v_mul_f32_e32 v1, 0x5f7ffffc, v1
	v_mul_f32_e32 v2, 0x2f800000, v1
	v_trunc_f32_e32 v2, v2
	v_madmk_f32 v1, v2, 0xcf800000, v1
	v_cvt_u32_f32_e32 v2, v2
	v_cvt_u32_f32_e32 v1, v1
	v_mul_lo_u32 v3, s0, v2
	v_mul_hi_u32 v5, s0, v1
	v_mul_lo_u32 v4, s1, v1
	v_add_u32_e32 v3, v5, v3
	v_add_u32_e32 v3, v3, v4
	v_mul_lo_u32 v6, s0, v1
	v_mul_lo_u32 v5, v1, v3
	v_mul_hi_u32 v7, v1, v6
	v_mul_hi_u32 v4, v1, v3
	v_add_co_u32_e32 v5, vcc, v7, v5
	v_addc_co_u32_e32 v4, vcc, 0, v4, vcc
	v_mul_hi_u32 v8, v2, v6
	v_mul_lo_u32 v6, v2, v6
	v_add_co_u32_e32 v5, vcc, v5, v6
	v_mul_hi_u32 v7, v2, v3
	v_addc_co_u32_e32 v4, vcc, v4, v8, vcc
	v_addc_co_u32_e32 v5, vcc, 0, v7, vcc
	v_mul_lo_u32 v3, v2, v3
	v_add_co_u32_e32 v3, vcc, v4, v3
	v_addc_co_u32_e32 v4, vcc, 0, v5, vcc
	v_add_co_u32_e32 v1, vcc, v1, v3
	v_addc_co_u32_e32 v2, vcc, v2, v4, vcc
	v_mul_lo_u32 v3, s0, v2
	v_mul_hi_u32 v4, s0, v1
	v_add_u32_e32 v3, v4, v3
	v_mul_lo_u32 v4, s1, v1
	v_add_u32_e32 v3, v3, v4
	v_mul_lo_u32 v5, s0, v1
	v_mul_hi_u32 v6, v2, v5
	v_mul_lo_u32 v7, v2, v5
	v_mul_lo_u32 v9, v1, v3
	v_mul_hi_u32 v5, v1, v5
	v_mul_hi_u32 v8, v1, v3
	v_add_co_u32_e32 v5, vcc, v5, v9
	v_addc_co_u32_e32 v8, vcc, 0, v8, vcc
	v_add_co_u32_e32 v5, vcc, v5, v7
	v_mul_hi_u32 v4, v2, v3
	v_addc_co_u32_e32 v5, vcc, v8, v6, vcc
	v_addc_co_u32_e32 v4, vcc, 0, v4, vcc
	v_mul_lo_u32 v3, v2, v3
	v_add_co_u32_e32 v3, vcc, v5, v3
	v_addc_co_u32_e32 v4, vcc, 0, v4, vcc
	v_add_co_u32_e32 v1, vcc, v1, v3
	v_addc_co_u32_e32 v4, vcc, v2, v4, vcc
	v_ashrrev_i32_e64 v6, 31, 0
	v_add_co_u32_e32 v2, vcc, v0, v6
	v_addc_co_u32_e32 v3, vcc, 0, v6, vcc
	v_xor_b32_e32 v8, v2, v6
	v_xor_b32_e32 v7, v3, v6
	v_mad_u64_u32 v[2:3], s[0:1], v8, v4, 0
	v_mul_hi_u32 v5, v8, v1
	v_add_co_u32_e32 v9, vcc, v5, v2
	v_addc_co_u32_e32 v10, vcc, 0, v3, vcc
	v_mad_u64_u32 v[2:3], s[0:1], v7, v4, 0
	v_mad_u64_u32 v[4:5], s[0:1], v7, v1, 0
	v_add_co_u32_e32 v1, vcc, v9, v4
	v_addc_co_u32_e32 v1, vcc, v10, v5, vcc
	v_addc_co_u32_e32 v3, vcc, 0, v3, vcc
	v_add_co_u32_e32 v1, vcc, v1, v2
	v_addc_co_u32_e32 v4, vcc, 0, v3, vcc
	v_mul_lo_u32 v5, s29, v1
	v_mul_lo_u32 v9, s28, v4
	v_mad_u64_u32 v[2:3], s[0:1], s28, v1, 0
	v_add3_u32 v3, v3, v9, v5
	v_sub_u32_e32 v5, v7, v3
	v_mov_b32_e32 v9, s29
	v_sub_co_u32_e32 v2, vcc, v8, v2
	v_subb_co_u32_e64 v5, s[0:1], v5, v9, vcc
	v_subrev_co_u32_e64 v8, s[0:1], s28, v2
	v_subbrev_co_u32_e64 v5, s[0:1], 0, v5, s[0:1]
	v_cmp_le_u32_e64 s[0:1], s29, v5
	v_cndmask_b32_e64 v9, 0, -1, s[0:1]
	v_cmp_le_u32_e64 s[0:1], s28, v8
	v_cndmask_b32_e64 v8, 0, -1, s[0:1]
	v_cmp_eq_u32_e64 s[0:1], s29, v5
	v_cndmask_b32_e64 v5, v9, v8, s[0:1]
	v_add_co_u32_e64 v8, s[0:1], 2, v1
	v_subb_co_u32_e32 v3, vcc, v7, v3, vcc
	v_addc_co_u32_e64 v9, s[0:1], 0, v4, s[0:1]
	v_cmp_le_u32_e32 vcc, s29, v3
	v_add_co_u32_e64 v10, s[0:1], 1, v1
	v_cndmask_b32_e64 v7, 0, -1, vcc
	v_cmp_le_u32_e32 vcc, s28, v2
	v_addc_co_u32_e64 v11, s[0:1], 0, v4, s[0:1]
	v_cndmask_b32_e64 v2, 0, -1, vcc
	v_cmp_eq_u32_e32 vcc, s29, v3
	v_cmp_ne_u32_e64 s[0:1], 0, v5
	v_cndmask_b32_e32 v2, v7, v2, vcc
	v_cmp_ne_u32_e32 vcc, 0, v2
	v_cndmask_b32_e64 v3, v10, v8, s[0:1]
	v_cndmask_b32_e64 v5, v11, v9, s[0:1]
	v_cndmask_b32_e32 v1, v1, v3, vcc
	v_xor_b32_e32 v3, s26, v6
	v_cndmask_b32_e32 v2, v4, v5, vcc
	v_xor_b32_e32 v1, v1, v3
	v_xor_b32_e32 v4, v2, v3
	v_sub_co_u32_e32 v2, vcc, v1, v3
	v_subb_co_u32_e32 v3, vcc, v4, v3, vcc
	s_cbranch_execnz .LBB9_4
.LBB9_3:
	v_cvt_f32_u32_e32 v1, s6
	s_sub_i32 s0, 0, s6
	v_rcp_iflag_f32_e32 v1, v1
	v_mul_f32_e32 v1, 0x4f7ffffe, v1
	v_cvt_u32_f32_e32 v1, v1
	v_mul_lo_u32 v2, s0, v1
	v_mul_hi_u32 v2, v1, v2
	v_add_u32_e32 v1, v1, v2
	v_mul_hi_u32 v1, v0, v1
	v_mul_lo_u32 v2, v1, s6
	v_sub_u32_e32 v2, v0, v2
	v_add_u32_e32 v3, 1, v1
	v_subrev_u32_e32 v4, s6, v2
	v_cmp_le_u32_e32 vcc, s6, v2
	v_cndmask_b32_e32 v2, v2, v4, vcc
	v_cndmask_b32_e32 v1, v1, v3, vcc
	v_add_u32_e32 v3, 1, v1
	v_cmp_le_u32_e32 vcc, s6, v2
	v_cndmask_b32_e32 v2, v1, v3, vcc
	v_mov_b32_e32 v3, 0
.LBB9_4:
	s_sub_u32 s0, 0, s24
	s_subb_u32 s1, 0, s25
	s_sub_u32 s4, 0, s10
	s_subb_u32 s5, 0, s11
	s_waitcnt lgkmcnt(0)
	s_add_i32 s2, s7, s20
	s_add_i32 s7, s8, s21
	s_mul_i32 s7, s7, s22
	s_add_i32 s2, s2, s7
	s_mul_i32 s7, s2, s19
	s_mul_hi_u32 s8, s2, s18
	s_add_i32 s8, s8, s7
	s_mul_i32 s7, s2, s18
	v_mul_lo_u32 v1, v3, s6
	v_mul_lo_u32 v6, v2, s3
	v_mad_u64_u32 v[4:5], s[18:19], v2, s6, 0
	v_add3_u32 v1, v5, v6, v1
	v_sub_co_u32_e32 v0, vcc, v0, v4
	v_subb_co_u32_e32 v1, vcc, 0, v1, vcc
	v_mov_b32_e32 v5, s11
	v_subrev_co_u32_e32 v4, vcc, s10, v0
	v_subb_co_u32_e32 v5, vcc, v1, v5, vcc
	v_ashrrev_i32_e32 v6, 31, v5
	v_xor_b32_e32 v4, v4, v6
	v_xor_b32_e32 v5, v5, v6
	v_sub_co_u32_e32 v4, vcc, v4, v6
	v_subb_co_u32_e32 v5, vcc, v5, v6, vcc
	v_mov_b32_e32 v6, s33
	v_subrev_co_u32_e32 v7, vcc, s31, v0
	v_subb_co_u32_e32 v6, vcc, v1, v6, vcc
	v_add_co_u32_e32 v7, vcc, 1, v7
	v_addc_co_u32_e32 v6, vcc, 0, v6, vcc
	v_ashrrev_i32_e32 v8, 31, v6
	v_xor_b32_e32 v7, v7, v8
	v_xor_b32_e32 v6, v6, v8
	v_sub_co_u32_e32 v9, vcc, v7, v8
	v_cmp_gt_i64_e64 s[18:19], s[4:5], 0
	v_subb_co_u32_e32 v8, vcc, v6, v8, vcc
	s_and_b64 s[18:19], s[18:19], exec
	v_mov_b32_e32 v6, s25
	v_subrev_co_u32_e32 v7, vcc, s24, v2
	s_cselect_b32 s18, s5, 0
	s_cselect_b32 s19, s4, 0
	v_cmp_gt_i64_e64 s[4:5], s[0:1], 0
	v_subb_co_u32_e32 v6, vcc, v3, v6, vcc
	s_and_b64 s[4:5], s[4:5], exec
	v_ashrrev_i32_e32 v10, 31, v6
	s_cselect_b32 s20, s1, 0
	s_cselect_b32 s21, s0, 0
	v_cmp_gt_i64_e64 s[0:1], s[10:11], 0
	v_xor_b32_e32 v7, v7, v10
	s_and_b64 s[0:1], s[0:1], exec
	v_cmp_gt_i64_e64 s[4:5], s[24:25], 0
	v_xor_b32_e32 v6, v6, v10
	v_sub_co_u32_e32 v7, vcc, v7, v10
	s_cselect_b32 s1, s11, 0
	s_cselect_b32 s0, s10, 0
	s_and_b64 s[4:5], s[4:5], exec
	v_subb_co_u32_e32 v6, vcc, v6, v10, vcc
	s_cselect_b32 s5, s25, 0
	s_cselect_b32 s4, s24, 0
	v_mov_b32_e32 v10, s35
	v_subrev_co_u32_e32 v11, vcc, s34, v2
	s_not_b64 s[0:1], s[0:1]
	v_subb_co_u32_e32 v10, vcc, v3, v10, vcc
	s_not_b64 s[4:5], s[4:5]
	v_add_co_u32_e32 v11, vcc, 1, v11
	s_add_u32 s22, s34, s24
	v_addc_co_u32_e32 v10, vcc, 0, v10, vcc
	s_addc_u32 s23, s35, s25
	v_ashrrev_i32_e32 v12, 31, v10
	s_add_u32 s4, s22, s4
	v_xor_b32_e32 v11, v11, v12
	s_addc_u32 s5, s23, s5
	v_xor_b32_e32 v10, v10, v12
	v_sub_co_u32_e32 v11, vcc, v11, v12
	s_add_u32 s4, s4, s21
	v_subb_co_u32_e32 v10, vcc, v10, v12, vcc
	s_addc_u32 s5, s5, s20
	s_add_u32 s4, s4, s7
	v_add_co_u32_e32 v11, vcc, v2, v11
	s_addc_u32 s5, s5, s8
	v_addc_co_u32_e32 v10, vcc, v3, v10, vcc
	v_mov_b32_e32 v12, s5
	v_sub_co_u32_e32 v11, vcc, s4, v11
	v_subb_co_u32_e32 v10, vcc, v12, v10, vcc
	v_add_co_u32_e32 v7, vcc, v11, v7
	v_addc_co_u32_e32 v6, vcc, v10, v6, vcc
	v_mul_lo_u32 v10, v6, s16
	v_mul_lo_u32 v11, v7, s17
	v_mad_u64_u32 v[6:7], s[4:5], v7, s16, 0
	s_add_u32 s4, s31, s10
	s_addc_u32 s5, s33, s11
	s_add_u32 s0, s4, s0
	s_addc_u32 s1, s5, s1
	s_add_u32 s0, s0, s19
	v_add_co_u32_e32 v9, vcc, v0, v9
	v_add3_u32 v7, v7, v11, v10
	s_addc_u32 s1, s1, s18
	v_addc_co_u32_e32 v10, vcc, v1, v8, vcc
	v_mov_b32_e32 v11, s1
	v_sub_co_u32_e32 v8, vcc, s0, v9
	v_subb_co_u32_e32 v9, vcc, v11, v10, vcc
	v_lshlrev_b64 v[8:9], 1, v[8:9]
	v_mov_b32_e32 v10, s13
	v_add_co_u32_e32 v8, vcc, s12, v8
	v_addc_co_u32_e32 v9, vcc, v10, v9, vcc
	v_lshlrev_b64 v[4:5], 1, v[4:5]
	v_add_co_u32_e32 v8, vcc, v8, v4
	v_addc_co_u32_e32 v9, vcc, v9, v5, vcc
	v_lshlrev_b64 v[4:5], 1, v[6:7]
	v_add_co_u32_e32 v4, vcc, v8, v4
	v_addc_co_u32_e32 v5, vcc, v9, v5, vcc
	global_load_ushort v4, v[4:5], off
	v_mov_b32_e32 v5, s2
	s_mul_i32 s30, s30, s2
	v_mad_u64_u32 v[2:3], s[0:1], s9, v5, v[2:3]
	v_add_u32_e32 v3, s30, v3
	v_mul_lo_u32 v5, v3, s6
	v_mul_lo_u32 v6, v2, s3
	v_mad_u64_u32 v[2:3], s[0:1], v2, s6, 0
	v_add3_u32 v3, v3, v6, v5
	v_lshlrev_b64 v[2:3], 1, v[2:3]
	v_mov_b32_e32 v5, s15
	v_add_co_u32_e32 v2, vcc, s14, v2
	v_addc_co_u32_e32 v3, vcc, v5, v3, vcc
	v_lshlrev_b64 v[0:1], 1, v[0:1]
	v_add_co_u32_e32 v0, vcc, v2, v0
	v_addc_co_u32_e32 v1, vcc, v3, v1, vcc
	s_waitcnt vmcnt(0)
	global_store_short v[0:1], v4, off
.LBB9_5:
	s_endpgm
.LBB9_6:
                                        ; implicit-def: $vgpr2_vgpr3
	s_branch .LBB9_3
	.section	.rodata,"a",@progbits
	.p2align	6, 0x0
	.amdhsa_kernel _ZN2at6native12_GLOBAL__N_127reflection_pad2d_out_kernelIN3c104HalfEEEvPKT_PS5_lliiiiiii
		.amdhsa_group_segment_fixed_size 0
		.amdhsa_private_segment_fixed_size 0
		.amdhsa_kernarg_size 320
		.amdhsa_user_sgpr_count 6
		.amdhsa_user_sgpr_private_segment_buffer 1
		.amdhsa_user_sgpr_dispatch_ptr 0
		.amdhsa_user_sgpr_queue_ptr 0
		.amdhsa_user_sgpr_kernarg_segment_ptr 1
		.amdhsa_user_sgpr_dispatch_id 0
		.amdhsa_user_sgpr_flat_scratch_init 0
		.amdhsa_user_sgpr_kernarg_preload_length 0
		.amdhsa_user_sgpr_kernarg_preload_offset 0
		.amdhsa_user_sgpr_private_segment_size 0
		.amdhsa_uses_dynamic_stack 0
		.amdhsa_system_sgpr_private_segment_wavefront_offset 0
		.amdhsa_system_sgpr_workgroup_id_x 1
		.amdhsa_system_sgpr_workgroup_id_y 1
		.amdhsa_system_sgpr_workgroup_id_z 1
		.amdhsa_system_sgpr_workgroup_info 0
		.amdhsa_system_vgpr_workitem_id 0
		.amdhsa_next_free_vgpr 13
		.amdhsa_next_free_sgpr 36
		.amdhsa_accum_offset 16
		.amdhsa_reserve_vcc 1
		.amdhsa_reserve_flat_scratch 0
		.amdhsa_float_round_mode_32 0
		.amdhsa_float_round_mode_16_64 0
		.amdhsa_float_denorm_mode_32 3
		.amdhsa_float_denorm_mode_16_64 3
		.amdhsa_dx10_clamp 1
		.amdhsa_ieee_mode 1
		.amdhsa_fp16_overflow 0
		.amdhsa_tg_split 0
		.amdhsa_exception_fp_ieee_invalid_op 0
		.amdhsa_exception_fp_denorm_src 0
		.amdhsa_exception_fp_ieee_div_zero 0
		.amdhsa_exception_fp_ieee_overflow 0
		.amdhsa_exception_fp_ieee_underflow 0
		.amdhsa_exception_fp_ieee_inexact 0
		.amdhsa_exception_int_div_zero 0
	.end_amdhsa_kernel
	.section	.text._ZN2at6native12_GLOBAL__N_127reflection_pad2d_out_kernelIN3c104HalfEEEvPKT_PS5_lliiiiiii,"axG",@progbits,_ZN2at6native12_GLOBAL__N_127reflection_pad2d_out_kernelIN3c104HalfEEEvPKT_PS5_lliiiiiii,comdat
.Lfunc_end9:
	.size	_ZN2at6native12_GLOBAL__N_127reflection_pad2d_out_kernelIN3c104HalfEEEvPKT_PS5_lliiiiiii, .Lfunc_end9-_ZN2at6native12_GLOBAL__N_127reflection_pad2d_out_kernelIN3c104HalfEEEvPKT_PS5_lliiiiiii
                                        ; -- End function
	.section	.AMDGPU.csdata,"",@progbits
; Kernel info:
; codeLenInByte = 1572
; NumSgprs: 40
; NumVgprs: 13
; NumAgprs: 0
; TotalNumVgprs: 13
; ScratchSize: 0
; MemoryBound: 0
; FloatMode: 240
; IeeeMode: 1
; LDSByteSize: 0 bytes/workgroup (compile time only)
; SGPRBlocks: 4
; VGPRBlocks: 1
; NumSGPRsForWavesPerEU: 40
; NumVGPRsForWavesPerEU: 13
; AccumOffset: 16
; Occupancy: 8
; WaveLimiterHint : 0
; COMPUTE_PGM_RSRC2:SCRATCH_EN: 0
; COMPUTE_PGM_RSRC2:USER_SGPR: 6
; COMPUTE_PGM_RSRC2:TRAP_HANDLER: 0
; COMPUTE_PGM_RSRC2:TGID_X_EN: 1
; COMPUTE_PGM_RSRC2:TGID_Y_EN: 1
; COMPUTE_PGM_RSRC2:TGID_Z_EN: 1
; COMPUTE_PGM_RSRC2:TIDIG_COMP_CNT: 0
; COMPUTE_PGM_RSRC3_GFX90A:ACCUM_OFFSET: 3
; COMPUTE_PGM_RSRC3_GFX90A:TG_SPLIT: 0
	.section	.text._ZN2at6native12_GLOBAL__N_127reflection_pad2d_out_kernelIN3c108BFloat16EEEvPKT_PS5_lliiiiiii,"axG",@progbits,_ZN2at6native12_GLOBAL__N_127reflection_pad2d_out_kernelIN3c108BFloat16EEEvPKT_PS5_lliiiiiii,comdat
	.globl	_ZN2at6native12_GLOBAL__N_127reflection_pad2d_out_kernelIN3c108BFloat16EEEvPKT_PS5_lliiiiiii ; -- Begin function _ZN2at6native12_GLOBAL__N_127reflection_pad2d_out_kernelIN3c108BFloat16EEEvPKT_PS5_lliiiiiii
	.p2align	8
	.type	_ZN2at6native12_GLOBAL__N_127reflection_pad2d_out_kernelIN3c108BFloat16EEEvPKT_PS5_lliiiiiii,@function
_ZN2at6native12_GLOBAL__N_127reflection_pad2d_out_kernelIN3c108BFloat16EEEvPKT_PS5_lliiiiiii: ; @_ZN2at6native12_GLOBAL__N_127reflection_pad2d_out_kernelIN3c108BFloat16EEEvPKT_PS5_lliiiiiii
; %bb.0:
	s_load_dword s9, s[4:5], 0x4c
	s_load_dwordx4 s[0:3], s[4:5], 0x20
	s_load_dwordx8 s[12:19], s[4:5], 0x0
	v_mov_b32_e32 v1, 0
	s_waitcnt lgkmcnt(0)
	s_and_b32 s9, s9, 0xffff
	s_ashr_i32 s11, s2, 31
	s_add_u32 s31, s2, s16
	s_mul_i32 s6, s6, s9
	s_mov_b32 s10, s2
	s_addc_u32 s33, s11, s17
	s_ashr_i32 s2, s3, 31
	v_add_u32_e32 v0, s6, v0
	s_add_u32 s6, s31, s3
	s_addc_u32 s3, s33, s2
	s_ashr_i32 s25, s0, 31
	s_add_u32 s34, s0, s18
	s_mov_b32 s24, s0
	s_addc_u32 s35, s25, s19
	s_ashr_i32 s0, s1, 31
	s_add_u32 s9, s34, s1
	s_addc_u32 s30, s35, s0
	s_mul_i32 s0, s6, s30
	s_mul_hi_u32 s1, s6, s9
	s_add_i32 s0, s1, s0
	s_mul_i32 s1, s3, s9
	s_add_i32 s1, s0, s1
	s_mul_i32 s0, s6, s9
	v_cmp_gt_i64_e32 vcc, s[0:1], v[0:1]
	s_and_saveexec_b64 s[0:1], vcc
	s_cbranch_execz .LBB10_5
; %bb.1:
	s_load_dwordx4 s[20:23], s[4:5], 0x30
	s_mov_b32 s2, 0
	s_cmp_lg_u64 s[2:3], 0
	s_cbranch_scc0 .LBB10_6
; %bb.2:
	s_ashr_i32 s26, s3, 31
	s_add_u32 s0, s6, s26
	s_mov_b32 s27, s26
	s_addc_u32 s1, s3, s26
	s_xor_b64 s[28:29], s[0:1], s[26:27]
	v_cvt_f32_u32_e32 v1, s28
	v_cvt_f32_u32_e32 v2, s29
	s_sub_u32 s0, 0, s28
	s_subb_u32 s1, 0, s29
	v_madmk_f32 v1, v2, 0x4f800000, v1
	v_rcp_f32_e32 v1, v1
	v_mul_f32_e32 v1, 0x5f7ffffc, v1
	v_mul_f32_e32 v2, 0x2f800000, v1
	v_trunc_f32_e32 v2, v2
	v_madmk_f32 v1, v2, 0xcf800000, v1
	v_cvt_u32_f32_e32 v2, v2
	v_cvt_u32_f32_e32 v1, v1
	v_mul_lo_u32 v3, s0, v2
	v_mul_hi_u32 v5, s0, v1
	v_mul_lo_u32 v4, s1, v1
	v_add_u32_e32 v3, v5, v3
	v_add_u32_e32 v3, v3, v4
	v_mul_lo_u32 v6, s0, v1
	v_mul_lo_u32 v5, v1, v3
	v_mul_hi_u32 v7, v1, v6
	v_mul_hi_u32 v4, v1, v3
	v_add_co_u32_e32 v5, vcc, v7, v5
	v_addc_co_u32_e32 v4, vcc, 0, v4, vcc
	v_mul_hi_u32 v8, v2, v6
	v_mul_lo_u32 v6, v2, v6
	v_add_co_u32_e32 v5, vcc, v5, v6
	v_mul_hi_u32 v7, v2, v3
	v_addc_co_u32_e32 v4, vcc, v4, v8, vcc
	v_addc_co_u32_e32 v5, vcc, 0, v7, vcc
	v_mul_lo_u32 v3, v2, v3
	v_add_co_u32_e32 v3, vcc, v4, v3
	v_addc_co_u32_e32 v4, vcc, 0, v5, vcc
	v_add_co_u32_e32 v1, vcc, v1, v3
	v_addc_co_u32_e32 v2, vcc, v2, v4, vcc
	v_mul_lo_u32 v3, s0, v2
	v_mul_hi_u32 v4, s0, v1
	v_add_u32_e32 v3, v4, v3
	v_mul_lo_u32 v4, s1, v1
	v_add_u32_e32 v3, v3, v4
	v_mul_lo_u32 v5, s0, v1
	v_mul_hi_u32 v6, v2, v5
	v_mul_lo_u32 v7, v2, v5
	v_mul_lo_u32 v9, v1, v3
	v_mul_hi_u32 v5, v1, v5
	v_mul_hi_u32 v8, v1, v3
	v_add_co_u32_e32 v5, vcc, v5, v9
	v_addc_co_u32_e32 v8, vcc, 0, v8, vcc
	v_add_co_u32_e32 v5, vcc, v5, v7
	v_mul_hi_u32 v4, v2, v3
	v_addc_co_u32_e32 v5, vcc, v8, v6, vcc
	v_addc_co_u32_e32 v4, vcc, 0, v4, vcc
	v_mul_lo_u32 v3, v2, v3
	v_add_co_u32_e32 v3, vcc, v5, v3
	v_addc_co_u32_e32 v4, vcc, 0, v4, vcc
	v_add_co_u32_e32 v1, vcc, v1, v3
	v_addc_co_u32_e32 v4, vcc, v2, v4, vcc
	v_ashrrev_i32_e64 v6, 31, 0
	v_add_co_u32_e32 v2, vcc, v0, v6
	v_addc_co_u32_e32 v3, vcc, 0, v6, vcc
	v_xor_b32_e32 v8, v2, v6
	v_xor_b32_e32 v7, v3, v6
	v_mad_u64_u32 v[2:3], s[0:1], v8, v4, 0
	v_mul_hi_u32 v5, v8, v1
	v_add_co_u32_e32 v9, vcc, v5, v2
	v_addc_co_u32_e32 v10, vcc, 0, v3, vcc
	v_mad_u64_u32 v[2:3], s[0:1], v7, v4, 0
	v_mad_u64_u32 v[4:5], s[0:1], v7, v1, 0
	v_add_co_u32_e32 v1, vcc, v9, v4
	v_addc_co_u32_e32 v1, vcc, v10, v5, vcc
	v_addc_co_u32_e32 v3, vcc, 0, v3, vcc
	v_add_co_u32_e32 v1, vcc, v1, v2
	v_addc_co_u32_e32 v4, vcc, 0, v3, vcc
	v_mul_lo_u32 v5, s29, v1
	v_mul_lo_u32 v9, s28, v4
	v_mad_u64_u32 v[2:3], s[0:1], s28, v1, 0
	v_add3_u32 v3, v3, v9, v5
	v_sub_u32_e32 v5, v7, v3
	v_mov_b32_e32 v9, s29
	v_sub_co_u32_e32 v2, vcc, v8, v2
	v_subb_co_u32_e64 v5, s[0:1], v5, v9, vcc
	v_subrev_co_u32_e64 v8, s[0:1], s28, v2
	v_subbrev_co_u32_e64 v5, s[0:1], 0, v5, s[0:1]
	v_cmp_le_u32_e64 s[0:1], s29, v5
	v_cndmask_b32_e64 v9, 0, -1, s[0:1]
	v_cmp_le_u32_e64 s[0:1], s28, v8
	v_cndmask_b32_e64 v8, 0, -1, s[0:1]
	v_cmp_eq_u32_e64 s[0:1], s29, v5
	v_cndmask_b32_e64 v5, v9, v8, s[0:1]
	v_add_co_u32_e64 v8, s[0:1], 2, v1
	v_subb_co_u32_e32 v3, vcc, v7, v3, vcc
	v_addc_co_u32_e64 v9, s[0:1], 0, v4, s[0:1]
	v_cmp_le_u32_e32 vcc, s29, v3
	v_add_co_u32_e64 v10, s[0:1], 1, v1
	v_cndmask_b32_e64 v7, 0, -1, vcc
	v_cmp_le_u32_e32 vcc, s28, v2
	v_addc_co_u32_e64 v11, s[0:1], 0, v4, s[0:1]
	v_cndmask_b32_e64 v2, 0, -1, vcc
	v_cmp_eq_u32_e32 vcc, s29, v3
	v_cmp_ne_u32_e64 s[0:1], 0, v5
	v_cndmask_b32_e32 v2, v7, v2, vcc
	v_cmp_ne_u32_e32 vcc, 0, v2
	v_cndmask_b32_e64 v3, v10, v8, s[0:1]
	v_cndmask_b32_e64 v5, v11, v9, s[0:1]
	v_cndmask_b32_e32 v1, v1, v3, vcc
	v_xor_b32_e32 v3, s26, v6
	v_cndmask_b32_e32 v2, v4, v5, vcc
	v_xor_b32_e32 v1, v1, v3
	v_xor_b32_e32 v4, v2, v3
	v_sub_co_u32_e32 v2, vcc, v1, v3
	v_subb_co_u32_e32 v3, vcc, v4, v3, vcc
	s_cbranch_execnz .LBB10_4
.LBB10_3:
	v_cvt_f32_u32_e32 v1, s6
	s_sub_i32 s0, 0, s6
	v_rcp_iflag_f32_e32 v1, v1
	v_mul_f32_e32 v1, 0x4f7ffffe, v1
	v_cvt_u32_f32_e32 v1, v1
	v_mul_lo_u32 v2, s0, v1
	v_mul_hi_u32 v2, v1, v2
	v_add_u32_e32 v1, v1, v2
	v_mul_hi_u32 v1, v0, v1
	v_mul_lo_u32 v2, v1, s6
	v_sub_u32_e32 v2, v0, v2
	v_add_u32_e32 v3, 1, v1
	v_subrev_u32_e32 v4, s6, v2
	v_cmp_le_u32_e32 vcc, s6, v2
	v_cndmask_b32_e32 v2, v2, v4, vcc
	v_cndmask_b32_e32 v1, v1, v3, vcc
	v_add_u32_e32 v3, 1, v1
	v_cmp_le_u32_e32 vcc, s6, v2
	v_cndmask_b32_e32 v2, v1, v3, vcc
	v_mov_b32_e32 v3, 0
.LBB10_4:
	s_sub_u32 s0, 0, s24
	s_subb_u32 s1, 0, s25
	s_sub_u32 s4, 0, s10
	s_subb_u32 s5, 0, s11
	s_waitcnt lgkmcnt(0)
	s_add_i32 s2, s7, s20
	s_add_i32 s7, s8, s21
	s_mul_i32 s7, s7, s22
	s_add_i32 s2, s2, s7
	s_mul_i32 s7, s2, s19
	s_mul_hi_u32 s8, s2, s18
	s_add_i32 s8, s8, s7
	s_mul_i32 s7, s2, s18
	v_mul_lo_u32 v1, v3, s6
	v_mul_lo_u32 v6, v2, s3
	v_mad_u64_u32 v[4:5], s[18:19], v2, s6, 0
	v_add3_u32 v1, v5, v6, v1
	v_sub_co_u32_e32 v0, vcc, v0, v4
	v_subb_co_u32_e32 v1, vcc, 0, v1, vcc
	v_mov_b32_e32 v5, s11
	v_subrev_co_u32_e32 v4, vcc, s10, v0
	v_subb_co_u32_e32 v5, vcc, v1, v5, vcc
	v_ashrrev_i32_e32 v6, 31, v5
	v_xor_b32_e32 v4, v4, v6
	v_xor_b32_e32 v5, v5, v6
	v_sub_co_u32_e32 v4, vcc, v4, v6
	v_subb_co_u32_e32 v5, vcc, v5, v6, vcc
	v_mov_b32_e32 v6, s33
	v_subrev_co_u32_e32 v7, vcc, s31, v0
	v_subb_co_u32_e32 v6, vcc, v1, v6, vcc
	v_add_co_u32_e32 v7, vcc, 1, v7
	v_addc_co_u32_e32 v6, vcc, 0, v6, vcc
	v_ashrrev_i32_e32 v8, 31, v6
	v_xor_b32_e32 v7, v7, v8
	v_xor_b32_e32 v6, v6, v8
	v_sub_co_u32_e32 v9, vcc, v7, v8
	v_cmp_gt_i64_e64 s[18:19], s[4:5], 0
	v_subb_co_u32_e32 v8, vcc, v6, v8, vcc
	s_and_b64 s[18:19], s[18:19], exec
	v_mov_b32_e32 v6, s25
	v_subrev_co_u32_e32 v7, vcc, s24, v2
	s_cselect_b32 s18, s5, 0
	s_cselect_b32 s19, s4, 0
	v_cmp_gt_i64_e64 s[4:5], s[0:1], 0
	v_subb_co_u32_e32 v6, vcc, v3, v6, vcc
	s_and_b64 s[4:5], s[4:5], exec
	v_ashrrev_i32_e32 v10, 31, v6
	s_cselect_b32 s20, s1, 0
	s_cselect_b32 s21, s0, 0
	v_cmp_gt_i64_e64 s[0:1], s[10:11], 0
	v_xor_b32_e32 v7, v7, v10
	s_and_b64 s[0:1], s[0:1], exec
	v_cmp_gt_i64_e64 s[4:5], s[24:25], 0
	v_xor_b32_e32 v6, v6, v10
	v_sub_co_u32_e32 v7, vcc, v7, v10
	s_cselect_b32 s1, s11, 0
	s_cselect_b32 s0, s10, 0
	s_and_b64 s[4:5], s[4:5], exec
	v_subb_co_u32_e32 v6, vcc, v6, v10, vcc
	s_cselect_b32 s5, s25, 0
	s_cselect_b32 s4, s24, 0
	v_mov_b32_e32 v10, s35
	v_subrev_co_u32_e32 v11, vcc, s34, v2
	s_not_b64 s[0:1], s[0:1]
	v_subb_co_u32_e32 v10, vcc, v3, v10, vcc
	s_not_b64 s[4:5], s[4:5]
	v_add_co_u32_e32 v11, vcc, 1, v11
	s_add_u32 s22, s34, s24
	v_addc_co_u32_e32 v10, vcc, 0, v10, vcc
	s_addc_u32 s23, s35, s25
	v_ashrrev_i32_e32 v12, 31, v10
	s_add_u32 s4, s22, s4
	v_xor_b32_e32 v11, v11, v12
	s_addc_u32 s5, s23, s5
	v_xor_b32_e32 v10, v10, v12
	v_sub_co_u32_e32 v11, vcc, v11, v12
	s_add_u32 s4, s4, s21
	v_subb_co_u32_e32 v10, vcc, v10, v12, vcc
	s_addc_u32 s5, s5, s20
	s_add_u32 s4, s4, s7
	v_add_co_u32_e32 v11, vcc, v2, v11
	s_addc_u32 s5, s5, s8
	v_addc_co_u32_e32 v10, vcc, v3, v10, vcc
	v_mov_b32_e32 v12, s5
	v_sub_co_u32_e32 v11, vcc, s4, v11
	v_subb_co_u32_e32 v10, vcc, v12, v10, vcc
	v_add_co_u32_e32 v7, vcc, v11, v7
	v_addc_co_u32_e32 v6, vcc, v10, v6, vcc
	v_mul_lo_u32 v10, v6, s16
	v_mul_lo_u32 v11, v7, s17
	v_mad_u64_u32 v[6:7], s[4:5], v7, s16, 0
	s_add_u32 s4, s31, s10
	s_addc_u32 s5, s33, s11
	s_add_u32 s0, s4, s0
	s_addc_u32 s1, s5, s1
	s_add_u32 s0, s0, s19
	v_add_co_u32_e32 v9, vcc, v0, v9
	v_add3_u32 v7, v7, v11, v10
	s_addc_u32 s1, s1, s18
	v_addc_co_u32_e32 v10, vcc, v1, v8, vcc
	v_mov_b32_e32 v11, s1
	v_sub_co_u32_e32 v8, vcc, s0, v9
	v_subb_co_u32_e32 v9, vcc, v11, v10, vcc
	v_lshlrev_b64 v[8:9], 1, v[8:9]
	v_mov_b32_e32 v10, s13
	v_add_co_u32_e32 v8, vcc, s12, v8
	v_addc_co_u32_e32 v9, vcc, v10, v9, vcc
	v_lshlrev_b64 v[4:5], 1, v[4:5]
	v_add_co_u32_e32 v8, vcc, v8, v4
	v_addc_co_u32_e32 v9, vcc, v9, v5, vcc
	v_lshlrev_b64 v[4:5], 1, v[6:7]
	v_add_co_u32_e32 v4, vcc, v8, v4
	v_addc_co_u32_e32 v5, vcc, v9, v5, vcc
	global_load_ushort v4, v[4:5], off
	v_mov_b32_e32 v5, s2
	s_mul_i32 s30, s30, s2
	v_mad_u64_u32 v[2:3], s[0:1], s9, v5, v[2:3]
	v_add_u32_e32 v3, s30, v3
	v_mul_lo_u32 v5, v3, s6
	v_mul_lo_u32 v6, v2, s3
	v_mad_u64_u32 v[2:3], s[0:1], v2, s6, 0
	v_add3_u32 v3, v3, v6, v5
	v_lshlrev_b64 v[2:3], 1, v[2:3]
	v_mov_b32_e32 v5, s15
	v_add_co_u32_e32 v2, vcc, s14, v2
	v_addc_co_u32_e32 v3, vcc, v5, v3, vcc
	v_lshlrev_b64 v[0:1], 1, v[0:1]
	v_add_co_u32_e32 v0, vcc, v2, v0
	v_addc_co_u32_e32 v1, vcc, v3, v1, vcc
	s_waitcnt vmcnt(0)
	global_store_short v[0:1], v4, off
.LBB10_5:
	s_endpgm
.LBB10_6:
                                        ; implicit-def: $vgpr2_vgpr3
	s_branch .LBB10_3
	.section	.rodata,"a",@progbits
	.p2align	6, 0x0
	.amdhsa_kernel _ZN2at6native12_GLOBAL__N_127reflection_pad2d_out_kernelIN3c108BFloat16EEEvPKT_PS5_lliiiiiii
		.amdhsa_group_segment_fixed_size 0
		.amdhsa_private_segment_fixed_size 0
		.amdhsa_kernarg_size 320
		.amdhsa_user_sgpr_count 6
		.amdhsa_user_sgpr_private_segment_buffer 1
		.amdhsa_user_sgpr_dispatch_ptr 0
		.amdhsa_user_sgpr_queue_ptr 0
		.amdhsa_user_sgpr_kernarg_segment_ptr 1
		.amdhsa_user_sgpr_dispatch_id 0
		.amdhsa_user_sgpr_flat_scratch_init 0
		.amdhsa_user_sgpr_kernarg_preload_length 0
		.amdhsa_user_sgpr_kernarg_preload_offset 0
		.amdhsa_user_sgpr_private_segment_size 0
		.amdhsa_uses_dynamic_stack 0
		.amdhsa_system_sgpr_private_segment_wavefront_offset 0
		.amdhsa_system_sgpr_workgroup_id_x 1
		.amdhsa_system_sgpr_workgroup_id_y 1
		.amdhsa_system_sgpr_workgroup_id_z 1
		.amdhsa_system_sgpr_workgroup_info 0
		.amdhsa_system_vgpr_workitem_id 0
		.amdhsa_next_free_vgpr 13
		.amdhsa_next_free_sgpr 36
		.amdhsa_accum_offset 16
		.amdhsa_reserve_vcc 1
		.amdhsa_reserve_flat_scratch 0
		.amdhsa_float_round_mode_32 0
		.amdhsa_float_round_mode_16_64 0
		.amdhsa_float_denorm_mode_32 3
		.amdhsa_float_denorm_mode_16_64 3
		.amdhsa_dx10_clamp 1
		.amdhsa_ieee_mode 1
		.amdhsa_fp16_overflow 0
		.amdhsa_tg_split 0
		.amdhsa_exception_fp_ieee_invalid_op 0
		.amdhsa_exception_fp_denorm_src 0
		.amdhsa_exception_fp_ieee_div_zero 0
		.amdhsa_exception_fp_ieee_overflow 0
		.amdhsa_exception_fp_ieee_underflow 0
		.amdhsa_exception_fp_ieee_inexact 0
		.amdhsa_exception_int_div_zero 0
	.end_amdhsa_kernel
	.section	.text._ZN2at6native12_GLOBAL__N_127reflection_pad2d_out_kernelIN3c108BFloat16EEEvPKT_PS5_lliiiiiii,"axG",@progbits,_ZN2at6native12_GLOBAL__N_127reflection_pad2d_out_kernelIN3c108BFloat16EEEvPKT_PS5_lliiiiiii,comdat
.Lfunc_end10:
	.size	_ZN2at6native12_GLOBAL__N_127reflection_pad2d_out_kernelIN3c108BFloat16EEEvPKT_PS5_lliiiiiii, .Lfunc_end10-_ZN2at6native12_GLOBAL__N_127reflection_pad2d_out_kernelIN3c108BFloat16EEEvPKT_PS5_lliiiiiii
                                        ; -- End function
	.section	.AMDGPU.csdata,"",@progbits
; Kernel info:
; codeLenInByte = 1572
; NumSgprs: 40
; NumVgprs: 13
; NumAgprs: 0
; TotalNumVgprs: 13
; ScratchSize: 0
; MemoryBound: 0
; FloatMode: 240
; IeeeMode: 1
; LDSByteSize: 0 bytes/workgroup (compile time only)
; SGPRBlocks: 4
; VGPRBlocks: 1
; NumSGPRsForWavesPerEU: 40
; NumVGPRsForWavesPerEU: 13
; AccumOffset: 16
; Occupancy: 8
; WaveLimiterHint : 0
; COMPUTE_PGM_RSRC2:SCRATCH_EN: 0
; COMPUTE_PGM_RSRC2:USER_SGPR: 6
; COMPUTE_PGM_RSRC2:TRAP_HANDLER: 0
; COMPUTE_PGM_RSRC2:TGID_X_EN: 1
; COMPUTE_PGM_RSRC2:TGID_Y_EN: 1
; COMPUTE_PGM_RSRC2:TGID_Z_EN: 1
; COMPUTE_PGM_RSRC2:TIDIG_COMP_CNT: 0
; COMPUTE_PGM_RSRC3_GFX90A:ACCUM_OFFSET: 3
; COMPUTE_PGM_RSRC3_GFX90A:TG_SPLIT: 0
	.section	.text._ZN2at6native12_GLOBAL__N_140reflection_pad2d_backward_det_out_kernelIdEEvPT_PKS3_lliiiiiii,"axG",@progbits,_ZN2at6native12_GLOBAL__N_140reflection_pad2d_backward_det_out_kernelIdEEvPT_PKS3_lliiiiiii,comdat
	.globl	_ZN2at6native12_GLOBAL__N_140reflection_pad2d_backward_det_out_kernelIdEEvPT_PKS3_lliiiiiii ; -- Begin function _ZN2at6native12_GLOBAL__N_140reflection_pad2d_backward_det_out_kernelIdEEvPT_PKS3_lliiiiiii
	.p2align	8
	.type	_ZN2at6native12_GLOBAL__N_140reflection_pad2d_backward_det_out_kernelIdEEvPT_PKS3_lliiiiiii,@function
_ZN2at6native12_GLOBAL__N_140reflection_pad2d_backward_det_out_kernelIdEEvPT_PKS3_lliiiiiii: ; @_ZN2at6native12_GLOBAL__N_140reflection_pad2d_backward_det_out_kernelIdEEvPT_PKS3_lliiiiiii
; %bb.0:
	s_load_dword s2, s[4:5], 0x4c
	s_load_dwordx2 s[0:1], s[4:5], 0x30
	s_load_dwordx8 s[8:15], s[4:5], 0x0
	s_add_u32 s18, s4, 64
	s_addc_u32 s19, s5, 0
	s_waitcnt lgkmcnt(0)
	s_and_b32 s22, s2, 0xffff
	s_ashr_i32 s2, s0, 31
	s_mul_i32 s3, s14, s13
	s_mul_hi_u32 s16, s14, s12
	s_add_i32 s33, s16, s3
	s_mul_i32 s3, s15, s12
	s_mul_i32 s50, s14, s12
	s_add_i32 s33, s33, s3
	s_mul_i32 s2, s50, s2
	s_mul_hi_u32 s16, s50, s0
	s_ashr_i32 s7, s1, 31
	s_mul_i32 s3, s33, s0
	s_add_i32 s2, s16, s2
	s_mul_i32 s0, s50, s0
	s_add_i32 s2, s2, s3
	s_mul_i32 s3, s0, s7
	s_mul_hi_u32 s16, s0, s1
	s_mul_i32 s6, s6, s22
	v_mov_b32_e32 v2, 0
	s_mul_i32 s2, s2, s1
	s_add_i32 s3, s16, s3
	v_add_u32_e32 v0, s6, v0
	v_mov_b32_e32 v1, v2
	s_add_i32 s17, s3, s2
	s_mul_i32 s16, s0, s1
	s_mov_b32 s6, s1
	v_cmp_gt_i64_e32 vcc, s[16:17], v[0:1]
	s_and_saveexec_b64 s[0:1], vcc
	s_cbranch_execz .LBB11_53
; %bb.1:
	s_load_dwordx4 s[0:3], s[4:5], 0x20
	s_load_dword s24, s[18:19], 0x0
	v_sub_co_u32_e32 v4, vcc, 0, v0
	s_mul_i32 s54, s50, s6
	s_waitcnt lgkmcnt(0)
	s_ashr_i32 s5, s2, 31
	s_add_u32 s34, s2, s12
	s_addc_u32 s35, s5, s13
	s_ashr_i32 s31, s3, 31
	s_add_u32 s51, s34, s3
	s_addc_u32 s52, s35, s31
	s_ashr_i32 s19, s0, 31
	s_mov_b32 s30, s3
	s_add_u32 s3, s0, s14
	s_addc_u32 s20, s19, s15
	s_ashr_i32 s27, s1, 31
	s_mov_b32 s26, s1
	s_add_u32 s1, s3, s1
	s_addc_u32 s3, s20, s27
	s_mul_i32 s3, s51, s3
	s_mul_hi_u32 s20, s51, s1
	s_add_i32 s3, s20, s3
	s_mul_i32 s20, s52, s1
	s_add_i32 s21, s3, s20
	s_mul_i32 s20, s51, s1
	s_mul_i32 s1, s50, s7
	s_mul_hi_u32 s3, s50, s6
	s_add_i32 s1, s3, s1
	s_mul_i32 s3, s33, s6
	s_add_i32 s53, s1, s3
	s_mul_hi_u32 s23, s22, s24
	s_mul_i32 s22, s22, s24
	s_add_u32 s24, s14, -1
	s_addc_u32 s25, s15, -1
	s_not_b64 s[26:27], s[26:27]
	s_add_u32 s26, s26, s14
	s_addc_u32 s27, s27, s15
	s_add_u32 s28, s12, -1
	s_addc_u32 s29, s13, -1
	s_not_b64 s[30:31], s[30:31]
	s_add_u32 s30, s30, s12
	s_mul_i32 s1, s20, s7
	s_mul_hi_u32 s3, s20, s6
	s_addc_u32 s31, s31, s13
	s_add_i32 s1, s3, s1
	s_mul_i32 s3, s21, s6
	s_add_i32 s55, s1, s3
	s_add_u32 s1, s12, s34
	s_addc_u32 s3, s13, s35
	s_add_u32 s57, s1, -2
	s_addc_u32 s58, s3, -1
	s_lshl_b64 s[34:35], s[24:25], 1
	s_add_u32 s59, s34, s0
	s_mov_b32 s18, s0
	s_addc_u32 s60, s35, s19
	s_lshl_b64 s[0:1], s[28:29], 1
	s_add_u32 s61, s0, s2
	s_addc_u32 s62, s1, s5
	s_mov_b32 s4, s2
	s_sub_u32 s63, 0, s14
	v_subb_co_u32_e64 v5, s[0:1], 0, 0, vcc
	s_subb_u32 s64, 0, s15
	s_lshl_b64 s[36:37], s[6:7], 3
	s_lshl_b64 s[38:39], s[12:13], 3
	;; [unrolled: 1-line block ×3, first 2 shown]
	s_add_u32 s65, s10, s0
	s_addc_u32 s66, s11, s1
	s_lshl_b64 s[40:41], s[22:23], 3
	s_sub_u32 s67, 0, s50
	s_mul_i32 s56, s20, s6
	s_mov_b64 s[34:35], 0
	v_lshlrev_b64 v[6:7], 3, v[0:1]
	s_subb_u32 s68, 0, s33
	s_branch .LBB11_4
.LBB11_2:                               ;   in Loop: Header=BB11_4 Depth=1
	s_or_b64 exec, exec, s[0:1]
.LBB11_3:                               ;   in Loop: Header=BB11_4 Depth=1
	s_or_b64 exec, exec, s[42:43]
	v_lshlrev_b64 v[10:11], 3, v[12:13]
	v_mul_lo_u32 v12, s36, v9
	v_mul_lo_u32 v13, s37, v8
	v_mad_u64_u32 v[8:9], s[0:1], s36, v8, v[10:11]
	v_add3_u32 v9, v13, v9, v12
	v_mul_lo_u32 v12, s39, v3
	v_mul_lo_u32 v13, s38, v24
	v_mad_u64_u32 v[10:11], s[0:1], s38, v3, 0
	v_add3_u32 v11, v11, v13, v12
	v_mul_lo_u32 v3, s20, v9
	v_mad_u64_u32 v[10:11], s[0:1], s20, v8, v[10:11]
	v_mul_lo_u32 v8, s21, v8
	v_add3_u32 v3, v8, v11, v3
	v_lshlrev_b64 v[8:9], 3, v[20:21]
	v_add_co_u32_e32 v8, vcc, v10, v8
	v_addc_co_u32_e32 v3, vcc, v3, v9, vcc
	v_add_co_u32_e32 v8, vcc, v6, v8
	v_addc_co_u32_e32 v3, vcc, v7, v3, vcc
	v_mov_b32_e32 v9, s66
	v_add_co_u32_e32 v8, vcc, s65, v8
	v_addc_co_u32_e32 v9, vcc, v9, v3, vcc
	v_mov_b32_e32 v3, s9
	v_add_co_u32_e32 v10, vcc, s8, v6
	global_load_dwordx2 v[8:9], v[8:9], off
	v_addc_co_u32_e32 v11, vcc, v3, v7, vcc
	global_load_dwordx2 v[12:13], v[10:11], off
	v_mov_b32_e32 v3, s23
	v_add_co_u32_e32 v0, vcc, s22, v0
	v_addc_co_u32_e32 v1, vcc, v1, v3, vcc
	v_subrev_co_u32_e32 v4, vcc, s22, v4
	v_subb_co_u32_e32 v5, vcc, v5, v3, vcc
	v_cmp_le_i64_e32 vcc, s[16:17], v[0:1]
	v_mov_b32_e32 v16, s41
	s_or_b64 s[34:35], vcc, s[34:35]
	v_add_co_u32_e32 v6, vcc, s40, v6
	v_addc_co_u32_e32 v7, vcc, v7, v16, vcc
	s_waitcnt vmcnt(1)
	v_add_f64 v[8:9], v[14:15], v[8:9]
	s_waitcnt vmcnt(0)
	v_add_f64 v[8:9], v[12:13], v[8:9]
	global_store_dwordx2 v[10:11], v[8:9], off
	s_andn2_b64 exec, exec, s[34:35]
	s_cbranch_execz .LBB11_53
.LBB11_4:                               ; =>This Inner Loop Header: Depth=1
	v_or_b32_e32 v3, s53, v1
	v_cmp_ne_u64_e32 vcc, 0, v[2:3]
	v_ashrrev_i32_e32 v12, 31, v1
                                        ; implicit-def: $vgpr8_vgpr9
	s_and_saveexec_b64 s[0:1], vcc
	s_xor_b64 s[2:3], exec, s[0:1]
	s_cbranch_execz .LBB11_6
; %bb.5:                                ;   in Loop: Header=BB11_4 Depth=1
	s_ashr_i32 s42, s53, 31
	s_add_u32 s0, s54, s42
	s_mov_b32 s43, s42
	s_addc_u32 s1, s53, s42
	s_xor_b64 s[44:45], s[0:1], s[42:43]
	v_cvt_f32_u32_e32 v3, s44
	v_cvt_f32_u32_e32 v8, s45
	s_sub_u32 s0, 0, s44
	s_subb_u32 s1, 0, s45
	v_mac_f32_e32 v3, 0x4f800000, v8
	v_rcp_f32_e32 v3, v3
	v_mul_f32_e32 v3, 0x5f7ffffc, v3
	v_mul_f32_e32 v8, 0x2f800000, v3
	v_trunc_f32_e32 v8, v8
	v_mac_f32_e32 v3, 0xcf800000, v8
	v_cvt_u32_f32_e32 v8, v8
	v_cvt_u32_f32_e32 v3, v3
	v_mul_lo_u32 v9, s0, v8
	v_mul_hi_u32 v11, s0, v3
	v_mul_lo_u32 v10, s1, v3
	v_add_u32_e32 v9, v11, v9
	v_mul_lo_u32 v13, s0, v3
	v_add_u32_e32 v9, v9, v10
	v_mul_lo_u32 v11, v3, v9
	v_mul_hi_u32 v14, v3, v13
	v_mul_hi_u32 v10, v3, v9
	v_add_co_u32_e32 v11, vcc, v14, v11
	v_addc_co_u32_e32 v10, vcc, 0, v10, vcc
	v_mul_hi_u32 v15, v8, v13
	v_mul_lo_u32 v13, v8, v13
	v_add_co_u32_e32 v11, vcc, v11, v13
	v_mul_hi_u32 v14, v8, v9
	v_addc_co_u32_e32 v10, vcc, v10, v15, vcc
	v_addc_co_u32_e32 v11, vcc, 0, v14, vcc
	v_mul_lo_u32 v9, v8, v9
	v_add_co_u32_e32 v9, vcc, v10, v9
	v_addc_co_u32_e32 v10, vcc, 0, v11, vcc
	v_add_co_u32_e32 v3, vcc, v3, v9
	v_addc_co_u32_e32 v8, vcc, v8, v10, vcc
	v_mul_lo_u32 v9, s0, v8
	v_mul_hi_u32 v10, s0, v3
	v_add_u32_e32 v9, v10, v9
	v_mul_lo_u32 v10, s1, v3
	v_add_u32_e32 v9, v9, v10
	v_mul_lo_u32 v11, s0, v3
	v_mul_hi_u32 v13, v8, v11
	v_mul_lo_u32 v14, v8, v11
	v_mul_lo_u32 v16, v3, v9
	v_mul_hi_u32 v11, v3, v11
	v_mul_hi_u32 v15, v3, v9
	v_add_co_u32_e32 v11, vcc, v11, v16
	v_addc_co_u32_e32 v15, vcc, 0, v15, vcc
	v_add_co_u32_e32 v11, vcc, v11, v14
	v_mul_hi_u32 v10, v8, v9
	v_addc_co_u32_e32 v11, vcc, v15, v13, vcc
	v_addc_co_u32_e32 v10, vcc, 0, v10, vcc
	v_mul_lo_u32 v9, v8, v9
	v_add_co_u32_e32 v9, vcc, v11, v9
	v_addc_co_u32_e32 v10, vcc, 0, v10, vcc
	v_add_co_u32_e32 v3, vcc, v3, v9
	v_addc_co_u32_e32 v10, vcc, v8, v10, vcc
	;; [unrolled: 2-line block ×3, first 2 shown]
	v_xor_b32_e32 v14, v8, v12
	v_xor_b32_e32 v13, v9, v12
	v_mad_u64_u32 v[8:9], s[0:1], v14, v10, 0
	v_mul_hi_u32 v11, v14, v3
	v_add_co_u32_e32 v15, vcc, v11, v8
	v_addc_co_u32_e32 v16, vcc, 0, v9, vcc
	v_mad_u64_u32 v[8:9], s[0:1], v13, v10, 0
	v_mad_u64_u32 v[10:11], s[0:1], v13, v3, 0
	v_add_co_u32_e32 v3, vcc, v15, v10
	v_addc_co_u32_e32 v3, vcc, v16, v11, vcc
	v_addc_co_u32_e32 v9, vcc, 0, v9, vcc
	v_add_co_u32_e32 v3, vcc, v3, v8
	v_addc_co_u32_e32 v10, vcc, 0, v9, vcc
	v_mul_lo_u32 v11, s45, v3
	v_mul_lo_u32 v15, s44, v10
	v_mad_u64_u32 v[8:9], s[0:1], s44, v3, 0
	v_add3_u32 v9, v9, v15, v11
	v_sub_u32_e32 v11, v13, v9
	v_mov_b32_e32 v15, s45
	v_sub_co_u32_e32 v8, vcc, v14, v8
	v_subb_co_u32_e64 v11, s[0:1], v11, v15, vcc
	v_subrev_co_u32_e64 v14, s[0:1], s44, v8
	v_subbrev_co_u32_e64 v11, s[0:1], 0, v11, s[0:1]
	v_cmp_le_u32_e64 s[0:1], s45, v11
	v_cndmask_b32_e64 v15, 0, -1, s[0:1]
	v_cmp_le_u32_e64 s[0:1], s44, v14
	v_cndmask_b32_e64 v14, 0, -1, s[0:1]
	v_cmp_eq_u32_e64 s[0:1], s45, v11
	v_cndmask_b32_e64 v11, v15, v14, s[0:1]
	v_add_co_u32_e64 v14, s[0:1], 2, v3
	v_subb_co_u32_e32 v9, vcc, v13, v9, vcc
	v_addc_co_u32_e64 v15, s[0:1], 0, v10, s[0:1]
	v_cmp_le_u32_e32 vcc, s45, v9
	v_add_co_u32_e64 v16, s[0:1], 1, v3
	v_cndmask_b32_e64 v13, 0, -1, vcc
	v_cmp_le_u32_e32 vcc, s44, v8
	v_addc_co_u32_e64 v17, s[0:1], 0, v10, s[0:1]
	v_cndmask_b32_e64 v8, 0, -1, vcc
	v_cmp_eq_u32_e32 vcc, s45, v9
	v_cmp_ne_u32_e64 s[0:1], 0, v11
	v_cndmask_b32_e32 v8, v13, v8, vcc
	v_cmp_ne_u32_e32 vcc, 0, v8
	v_cndmask_b32_e64 v9, v16, v14, s[0:1]
	v_cndmask_b32_e64 v11, v17, v15, s[0:1]
	v_cndmask_b32_e32 v3, v3, v9, vcc
	v_xor_b32_e32 v9, s42, v12
	v_cndmask_b32_e32 v8, v10, v11, vcc
	v_xor_b32_e32 v3, v3, v9
	v_xor_b32_e32 v10, v8, v9
	v_sub_co_u32_e32 v8, vcc, v3, v9
	v_subb_co_u32_e32 v9, vcc, v10, v9, vcc
.LBB11_6:                               ;   in Loop: Header=BB11_4 Depth=1
	s_andn2_saveexec_b64 s[0:1], s[2:3]
	s_cbranch_execz .LBB11_8
; %bb.7:                                ;   in Loop: Header=BB11_4 Depth=1
	v_cvt_f32_u32_e32 v3, s54
	s_sub_i32 s2, 0, s54
	v_rcp_iflag_f32_e32 v3, v3
	v_mul_f32_e32 v3, 0x4f7ffffe, v3
	v_cvt_u32_f32_e32 v3, v3
	v_mul_lo_u32 v8, s2, v3
	v_mul_hi_u32 v8, v3, v8
	v_add_u32_e32 v3, v3, v8
	v_mul_hi_u32 v3, v0, v3
	v_mul_lo_u32 v8, v3, s54
	v_sub_u32_e32 v8, v0, v8
	v_add_u32_e32 v9, 1, v3
	v_subrev_u32_e32 v10, s54, v8
	v_cmp_le_u32_e32 vcc, s54, v8
	v_cndmask_b32_e32 v8, v8, v10, vcc
	v_cndmask_b32_e32 v3, v3, v9, vcc
	v_add_u32_e32 v9, 1, v3
	v_cmp_le_u32_e32 vcc, s54, v8
	v_cndmask_b32_e32 v8, v3, v9, vcc
	v_mov_b32_e32 v9, v2
.LBB11_8:                               ;   in Loop: Header=BB11_4 Depth=1
	s_or_b64 exec, exec, s[0:1]
	v_or_b32_e32 v3, s33, v1
	v_cmp_ne_u64_e32 vcc, 0, v[2:3]
                                        ; implicit-def: $vgpr10_vgpr11
	s_and_saveexec_b64 s[0:1], vcc
	s_xor_b64 s[2:3], exec, s[0:1]
	s_cbranch_execz .LBB11_10
; %bb.9:                                ;   in Loop: Header=BB11_4 Depth=1
	s_ashr_i32 s42, s33, 31
	s_add_u32 s0, s50, s42
	s_mov_b32 s43, s42
	s_addc_u32 s1, s33, s42
	s_xor_b64 s[44:45], s[0:1], s[42:43]
	v_cvt_f32_u32_e32 v3, s44
	v_cvt_f32_u32_e32 v10, s45
	s_sub_u32 s0, 0, s44
	s_subb_u32 s1, 0, s45
	v_mac_f32_e32 v3, 0x4f800000, v10
	v_rcp_f32_e32 v3, v3
	v_mul_f32_e32 v3, 0x5f7ffffc, v3
	v_mul_f32_e32 v10, 0x2f800000, v3
	v_trunc_f32_e32 v10, v10
	v_mac_f32_e32 v3, 0xcf800000, v10
	v_cvt_u32_f32_e32 v10, v10
	v_cvt_u32_f32_e32 v3, v3
	v_mul_lo_u32 v11, s0, v10
	v_mul_hi_u32 v14, s0, v3
	v_mul_lo_u32 v13, s1, v3
	v_add_u32_e32 v11, v14, v11
	v_mul_lo_u32 v15, s0, v3
	v_add_u32_e32 v11, v11, v13
	v_mul_lo_u32 v14, v3, v11
	v_mul_hi_u32 v16, v3, v15
	v_mul_hi_u32 v13, v3, v11
	v_add_co_u32_e32 v14, vcc, v16, v14
	v_addc_co_u32_e32 v13, vcc, 0, v13, vcc
	v_mul_hi_u32 v17, v10, v15
	v_mul_lo_u32 v15, v10, v15
	v_add_co_u32_e32 v14, vcc, v14, v15
	v_mul_hi_u32 v16, v10, v11
	v_addc_co_u32_e32 v13, vcc, v13, v17, vcc
	v_addc_co_u32_e32 v14, vcc, 0, v16, vcc
	v_mul_lo_u32 v11, v10, v11
	v_add_co_u32_e32 v11, vcc, v13, v11
	v_addc_co_u32_e32 v13, vcc, 0, v14, vcc
	v_add_co_u32_e32 v3, vcc, v3, v11
	v_addc_co_u32_e32 v10, vcc, v10, v13, vcc
	v_mul_lo_u32 v11, s0, v10
	v_mul_hi_u32 v13, s0, v3
	v_add_u32_e32 v11, v13, v11
	v_mul_lo_u32 v13, s1, v3
	v_add_u32_e32 v11, v11, v13
	v_mul_lo_u32 v14, s0, v3
	v_mul_hi_u32 v15, v10, v14
	v_mul_lo_u32 v16, v10, v14
	v_mul_lo_u32 v18, v3, v11
	v_mul_hi_u32 v14, v3, v14
	v_mul_hi_u32 v17, v3, v11
	v_add_co_u32_e32 v14, vcc, v14, v18
	v_addc_co_u32_e32 v17, vcc, 0, v17, vcc
	v_add_co_u32_e32 v14, vcc, v14, v16
	v_mul_hi_u32 v13, v10, v11
	v_addc_co_u32_e32 v14, vcc, v17, v15, vcc
	v_addc_co_u32_e32 v13, vcc, 0, v13, vcc
	v_mul_lo_u32 v11, v10, v11
	v_add_co_u32_e32 v11, vcc, v14, v11
	v_addc_co_u32_e32 v13, vcc, 0, v13, vcc
	v_add_co_u32_e32 v3, vcc, v3, v11
	v_addc_co_u32_e32 v13, vcc, v10, v13, vcc
	;; [unrolled: 2-line block ×3, first 2 shown]
	v_xor_b32_e32 v17, v10, v12
	v_xor_b32_e32 v16, v11, v12
	v_mad_u64_u32 v[10:11], s[0:1], v17, v13, 0
	v_mul_hi_u32 v14, v17, v3
	v_add_co_u32_e32 v18, vcc, v14, v10
	v_addc_co_u32_e32 v19, vcc, 0, v11, vcc
	v_mad_u64_u32 v[14:15], s[0:1], v16, v3, 0
	v_add_co_u32_e32 v3, vcc, v18, v14
	v_mad_u64_u32 v[10:11], s[0:1], v16, v13, 0
	v_addc_co_u32_e32 v3, vcc, v19, v15, vcc
	v_addc_co_u32_e32 v11, vcc, 0, v11, vcc
	v_add_co_u32_e32 v3, vcc, v3, v10
	v_addc_co_u32_e32 v13, vcc, 0, v11, vcc
	v_mul_lo_u32 v14, s45, v3
	v_mul_lo_u32 v15, s44, v13
	v_mad_u64_u32 v[10:11], s[0:1], s44, v3, 0
	v_add3_u32 v11, v11, v15, v14
	v_sub_u32_e32 v14, v16, v11
	v_mov_b32_e32 v15, s45
	v_sub_co_u32_e32 v10, vcc, v17, v10
	v_subb_co_u32_e64 v14, s[0:1], v14, v15, vcc
	v_subrev_co_u32_e64 v15, s[0:1], s44, v10
	v_subbrev_co_u32_e64 v14, s[0:1], 0, v14, s[0:1]
	v_cmp_le_u32_e64 s[0:1], s45, v14
	v_cndmask_b32_e64 v17, 0, -1, s[0:1]
	v_cmp_le_u32_e64 s[0:1], s44, v15
	v_cndmask_b32_e64 v15, 0, -1, s[0:1]
	v_cmp_eq_u32_e64 s[0:1], s45, v14
	v_cndmask_b32_e64 v14, v17, v15, s[0:1]
	v_add_co_u32_e64 v15, s[0:1], 2, v3
	v_subb_co_u32_e32 v11, vcc, v16, v11, vcc
	v_addc_co_u32_e64 v17, s[0:1], 0, v13, s[0:1]
	v_cmp_le_u32_e32 vcc, s45, v11
	v_add_co_u32_e64 v18, s[0:1], 1, v3
	v_cndmask_b32_e64 v16, 0, -1, vcc
	v_cmp_le_u32_e32 vcc, s44, v10
	v_addc_co_u32_e64 v19, s[0:1], 0, v13, s[0:1]
	v_cndmask_b32_e64 v10, 0, -1, vcc
	v_cmp_eq_u32_e32 vcc, s45, v11
	v_cmp_ne_u32_e64 s[0:1], 0, v14
	v_cndmask_b32_e32 v10, v16, v10, vcc
	v_cmp_ne_u32_e32 vcc, 0, v10
	v_cndmask_b32_e64 v11, v18, v15, s[0:1]
	v_cndmask_b32_e64 v14, v19, v17, s[0:1]
	v_cndmask_b32_e32 v3, v3, v11, vcc
	v_xor_b32_e32 v11, s42, v12
	v_cndmask_b32_e32 v10, v13, v14, vcc
	v_xor_b32_e32 v3, v3, v11
	v_xor_b32_e32 v12, v10, v11
	v_sub_co_u32_e32 v10, vcc, v3, v11
	v_subb_co_u32_e32 v11, vcc, v12, v11, vcc
.LBB11_10:                              ;   in Loop: Header=BB11_4 Depth=1
	s_andn2_saveexec_b64 s[0:1], s[2:3]
	s_cbranch_execz .LBB11_12
; %bb.11:                               ;   in Loop: Header=BB11_4 Depth=1
	v_cvt_f32_u32_e32 v3, s50
	s_sub_i32 s2, 0, s50
	v_rcp_iflag_f32_e32 v3, v3
	v_mul_f32_e32 v3, 0x4f7ffffe, v3
	v_cvt_u32_f32_e32 v3, v3
	v_mul_lo_u32 v10, s2, v3
	v_mul_hi_u32 v10, v3, v10
	v_add_u32_e32 v3, v3, v10
	v_mul_hi_u32 v3, v0, v3
	v_mul_lo_u32 v10, v3, s50
	v_sub_u32_e32 v10, v0, v10
	v_add_u32_e32 v11, 1, v3
	v_subrev_u32_e32 v12, s50, v10
	v_cmp_le_u32_e32 vcc, s50, v10
	v_cndmask_b32_e32 v10, v10, v12, vcc
	v_cndmask_b32_e32 v3, v3, v11, vcc
	v_add_u32_e32 v11, 1, v3
	v_cmp_le_u32_e32 vcc, s50, v10
	v_cndmask_b32_e32 v10, v3, v11, vcc
	v_mov_b32_e32 v11, v2
.LBB11_12:                              ;   in Loop: Header=BB11_4 Depth=1
	s_or_b64 exec, exec, s[0:1]
	v_or_b32_e32 v3, s7, v11
	v_cmp_ne_u64_e32 vcc, 0, v[2:3]
                                        ; implicit-def: $vgpr12_vgpr13
	s_and_saveexec_b64 s[0:1], vcc
	s_xor_b64 s[42:43], exec, s[0:1]
	s_cbranch_execz .LBB11_14
; %bb.13:                               ;   in Loop: Header=BB11_4 Depth=1
	s_add_u32 s2, s6, s7
	s_mov_b32 s0, s7
	s_mov_b32 s1, s7
	s_addc_u32 s3, s7, s7
	s_xor_b64 s[44:45], s[2:3], s[0:1]
	v_cvt_f32_u32_e32 v3, s44
	v_cvt_f32_u32_e32 v12, s45
	s_sub_u32 s0, 0, s44
	s_subb_u32 s1, 0, s45
	v_mac_f32_e32 v3, 0x4f800000, v12
	v_rcp_f32_e32 v3, v3
	v_mul_f32_e32 v3, 0x5f7ffffc, v3
	v_mul_f32_e32 v12, 0x2f800000, v3
	v_trunc_f32_e32 v12, v12
	v_mac_f32_e32 v3, 0xcf800000, v12
	v_cvt_u32_f32_e32 v12, v12
	v_cvt_u32_f32_e32 v3, v3
	v_mul_lo_u32 v13, s0, v12
	v_mul_hi_u32 v15, s0, v3
	v_mul_lo_u32 v14, s1, v3
	v_add_u32_e32 v13, v15, v13
	v_mul_lo_u32 v16, s0, v3
	v_add_u32_e32 v13, v13, v14
	v_mul_lo_u32 v15, v3, v13
	v_mul_hi_u32 v17, v3, v16
	v_mul_hi_u32 v14, v3, v13
	v_add_co_u32_e32 v15, vcc, v17, v15
	v_addc_co_u32_e32 v14, vcc, 0, v14, vcc
	v_mul_hi_u32 v18, v12, v16
	v_mul_lo_u32 v16, v12, v16
	v_add_co_u32_e32 v15, vcc, v15, v16
	v_mul_hi_u32 v17, v12, v13
	v_addc_co_u32_e32 v14, vcc, v14, v18, vcc
	v_addc_co_u32_e32 v15, vcc, 0, v17, vcc
	v_mul_lo_u32 v13, v12, v13
	v_add_co_u32_e32 v13, vcc, v14, v13
	v_addc_co_u32_e32 v14, vcc, 0, v15, vcc
	v_add_co_u32_e32 v3, vcc, v3, v13
	v_addc_co_u32_e32 v12, vcc, v12, v14, vcc
	v_mul_lo_u32 v13, s0, v12
	v_mul_hi_u32 v14, s0, v3
	v_add_u32_e32 v13, v14, v13
	v_mul_lo_u32 v14, s1, v3
	v_add_u32_e32 v13, v13, v14
	v_mul_lo_u32 v15, s0, v3
	v_mul_hi_u32 v16, v12, v15
	v_mul_lo_u32 v17, v12, v15
	v_mul_lo_u32 v19, v3, v13
	v_mul_hi_u32 v15, v3, v15
	v_mul_hi_u32 v18, v3, v13
	v_add_co_u32_e32 v15, vcc, v15, v19
	v_addc_co_u32_e32 v18, vcc, 0, v18, vcc
	v_add_co_u32_e32 v15, vcc, v15, v17
	v_mul_hi_u32 v14, v12, v13
	v_addc_co_u32_e32 v15, vcc, v18, v16, vcc
	v_addc_co_u32_e32 v14, vcc, 0, v14, vcc
	v_mul_lo_u32 v13, v12, v13
	v_add_co_u32_e32 v13, vcc, v15, v13
	v_addc_co_u32_e32 v14, vcc, 0, v14, vcc
	v_add_co_u32_e32 v3, vcc, v3, v13
	v_addc_co_u32_e32 v14, vcc, v12, v14, vcc
	v_ashrrev_i32_e32 v16, 31, v11
	v_add_co_u32_e32 v12, vcc, v10, v16
	v_addc_co_u32_e32 v13, vcc, v11, v16, vcc
	v_xor_b32_e32 v18, v12, v16
	v_xor_b32_e32 v17, v13, v16
	v_mad_u64_u32 v[12:13], s[0:1], v18, v14, 0
	v_mul_hi_u32 v15, v18, v3
	v_add_co_u32_e32 v19, vcc, v15, v12
	v_addc_co_u32_e32 v20, vcc, 0, v13, vcc
	v_mad_u64_u32 v[12:13], s[0:1], v17, v14, 0
	v_mad_u64_u32 v[14:15], s[0:1], v17, v3, 0
	v_add_co_u32_e32 v3, vcc, v19, v14
	v_addc_co_u32_e32 v3, vcc, v20, v15, vcc
	v_addc_co_u32_e32 v13, vcc, 0, v13, vcc
	v_add_co_u32_e32 v3, vcc, v3, v12
	v_addc_co_u32_e32 v12, vcc, 0, v13, vcc
	v_mul_lo_u32 v14, s45, v3
	v_mul_lo_u32 v15, s44, v12
	v_mad_u64_u32 v[12:13], s[0:1], s44, v3, 0
	v_add3_u32 v3, v13, v15, v14
	v_sub_u32_e32 v13, v17, v3
	v_mov_b32_e32 v14, s45
	v_sub_co_u32_e32 v12, vcc, v18, v12
	v_subb_co_u32_e64 v13, s[0:1], v13, v14, vcc
	v_subrev_co_u32_e64 v15, s[0:1], s44, v12
	v_subbrev_co_u32_e64 v18, s[2:3], 0, v13, s[0:1]
	v_cmp_le_u32_e64 s[2:3], s45, v18
	v_cndmask_b32_e64 v19, 0, -1, s[2:3]
	v_cmp_le_u32_e64 s[2:3], s44, v15
	v_subb_co_u32_e64 v13, s[0:1], v13, v14, s[0:1]
	v_cndmask_b32_e64 v20, 0, -1, s[2:3]
	v_cmp_eq_u32_e64 s[2:3], s45, v18
	v_subrev_co_u32_e64 v14, s[0:1], s44, v15
	v_subb_co_u32_e32 v3, vcc, v17, v3, vcc
	v_cndmask_b32_e64 v19, v19, v20, s[2:3]
	v_subbrev_co_u32_e64 v13, s[0:1], 0, v13, s[0:1]
	v_cmp_le_u32_e32 vcc, s45, v3
	v_cmp_ne_u32_e64 s[0:1], 0, v19
	v_cndmask_b32_e64 v17, 0, -1, vcc
	v_cmp_le_u32_e32 vcc, s44, v12
	v_cndmask_b32_e64 v13, v18, v13, s[0:1]
	v_cndmask_b32_e64 v18, 0, -1, vcc
	v_cmp_eq_u32_e32 vcc, s45, v3
	v_cndmask_b32_e32 v17, v17, v18, vcc
	v_cmp_ne_u32_e32 vcc, 0, v17
	v_cndmask_b32_e32 v3, v3, v13, vcc
	v_cndmask_b32_e64 v13, v15, v14, s[0:1]
	v_cndmask_b32_e32 v12, v12, v13, vcc
	v_xor_b32_e32 v12, v12, v16
	v_xor_b32_e32 v3, v3, v16
	v_sub_co_u32_e32 v12, vcc, v12, v16
	v_subb_co_u32_e32 v13, vcc, v3, v16, vcc
.LBB11_14:                              ;   in Loop: Header=BB11_4 Depth=1
	s_andn2_saveexec_b64 s[0:1], s[42:43]
	s_cbranch_execz .LBB11_16
; %bb.15:                               ;   in Loop: Header=BB11_4 Depth=1
	v_cvt_f32_u32_e32 v3, s6
	s_sub_i32 s2, 0, s6
	v_mov_b32_e32 v13, v2
	v_rcp_iflag_f32_e32 v3, v3
	v_mul_f32_e32 v3, 0x4f7ffffe, v3
	v_cvt_u32_f32_e32 v3, v3
	v_mul_lo_u32 v12, s2, v3
	v_mul_hi_u32 v12, v3, v12
	v_add_u32_e32 v3, v3, v12
	v_mul_hi_u32 v3, v10, v3
	v_mul_lo_u32 v3, v3, s6
	v_sub_u32_e32 v3, v10, v3
	v_subrev_u32_e32 v12, s6, v3
	v_cmp_le_u32_e32 vcc, s6, v3
	v_cndmask_b32_e32 v3, v3, v12, vcc
	v_subrev_u32_e32 v12, s6, v3
	v_cmp_le_u32_e32 vcc, s6, v3
	v_cndmask_b32_e32 v12, v3, v12, vcc
.LBB11_16:                              ;   in Loop: Header=BB11_4 Depth=1
	s_or_b64 exec, exec, s[0:1]
	v_mad_u64_u32 v[14:15], s[0:1], s67, v10, v[0:1]
	v_mul_lo_u32 v3, s67, v11
	v_mul_lo_u32 v16, s68, v10
	v_add3_u32 v15, v16, v15, v3
	v_or_b32_e32 v3, s13, v15
	v_cmp_ne_u64_e32 vcc, 0, v[2:3]
                                        ; implicit-def: $vgpr16_vgpr17
	s_and_saveexec_b64 s[0:1], vcc
	s_xor_b64 s[2:3], exec, s[0:1]
	s_cbranch_execz .LBB11_18
; %bb.17:                               ;   in Loop: Header=BB11_4 Depth=1
	s_ashr_i32 s42, s13, 31
	s_add_u32 s0, s12, s42
	s_mov_b32 s43, s42
	s_addc_u32 s1, s13, s42
	s_xor_b64 s[44:45], s[0:1], s[42:43]
	v_cvt_f32_u32_e32 v3, s44
	v_cvt_f32_u32_e32 v16, s45
	s_sub_u32 s0, 0, s44
	s_subb_u32 s1, 0, s45
	v_mac_f32_e32 v3, 0x4f800000, v16
	v_rcp_f32_e32 v3, v3
	v_mul_f32_e32 v3, 0x5f7ffffc, v3
	v_mul_f32_e32 v16, 0x2f800000, v3
	v_trunc_f32_e32 v16, v16
	v_mac_f32_e32 v3, 0xcf800000, v16
	v_cvt_u32_f32_e32 v16, v16
	v_cvt_u32_f32_e32 v3, v3
	v_mul_lo_u32 v17, s0, v16
	v_mul_hi_u32 v19, s0, v3
	v_mul_lo_u32 v18, s1, v3
	v_add_u32_e32 v17, v19, v17
	v_mul_lo_u32 v20, s0, v3
	v_add_u32_e32 v17, v17, v18
	v_mul_lo_u32 v19, v3, v17
	v_mul_hi_u32 v21, v3, v20
	v_mul_hi_u32 v18, v3, v17
	v_add_co_u32_e32 v19, vcc, v21, v19
	v_addc_co_u32_e32 v18, vcc, 0, v18, vcc
	v_mul_hi_u32 v22, v16, v20
	v_mul_lo_u32 v20, v16, v20
	v_add_co_u32_e32 v19, vcc, v19, v20
	v_mul_hi_u32 v21, v16, v17
	v_addc_co_u32_e32 v18, vcc, v18, v22, vcc
	v_addc_co_u32_e32 v19, vcc, 0, v21, vcc
	v_mul_lo_u32 v17, v16, v17
	v_add_co_u32_e32 v17, vcc, v18, v17
	v_addc_co_u32_e32 v18, vcc, 0, v19, vcc
	v_add_co_u32_e32 v3, vcc, v3, v17
	v_addc_co_u32_e32 v16, vcc, v16, v18, vcc
	v_mul_lo_u32 v17, s0, v16
	v_mul_hi_u32 v18, s0, v3
	v_add_u32_e32 v17, v18, v17
	v_mul_lo_u32 v18, s1, v3
	v_add_u32_e32 v17, v17, v18
	v_mul_lo_u32 v19, s0, v3
	v_mul_hi_u32 v20, v16, v19
	v_mul_lo_u32 v21, v16, v19
	v_mul_lo_u32 v23, v3, v17
	v_mul_hi_u32 v19, v3, v19
	v_mul_hi_u32 v22, v3, v17
	v_add_co_u32_e32 v19, vcc, v19, v23
	v_addc_co_u32_e32 v22, vcc, 0, v22, vcc
	v_add_co_u32_e32 v19, vcc, v19, v21
	v_mul_hi_u32 v18, v16, v17
	v_addc_co_u32_e32 v19, vcc, v22, v20, vcc
	v_addc_co_u32_e32 v18, vcc, 0, v18, vcc
	v_mul_lo_u32 v17, v16, v17
	v_add_co_u32_e32 v17, vcc, v19, v17
	v_addc_co_u32_e32 v18, vcc, 0, v18, vcc
	v_add_co_u32_e32 v3, vcc, v3, v17
	v_addc_co_u32_e32 v16, vcc, v16, v18, vcc
	v_ashrrev_i32_e32 v18, 31, v15
	v_add_co_u32_e32 v14, vcc, v14, v18
	v_addc_co_u32_e32 v15, vcc, v15, v18, vcc
	v_xor_b32_e32 v20, v14, v18
	v_xor_b32_e32 v19, v15, v18
	v_mad_u64_u32 v[14:15], s[0:1], v20, v16, 0
	v_mul_hi_u32 v17, v20, v3
	v_add_co_u32_e32 v21, vcc, v17, v14
	v_addc_co_u32_e32 v22, vcc, 0, v15, vcc
	v_mad_u64_u32 v[14:15], s[0:1], v19, v16, 0
	v_mad_u64_u32 v[16:17], s[0:1], v19, v3, 0
	v_add_co_u32_e32 v3, vcc, v21, v16
	v_addc_co_u32_e32 v3, vcc, v22, v17, vcc
	v_addc_co_u32_e32 v15, vcc, 0, v15, vcc
	v_add_co_u32_e32 v3, vcc, v3, v14
	v_addc_co_u32_e32 v16, vcc, 0, v15, vcc
	v_mul_lo_u32 v17, s45, v3
	v_mul_lo_u32 v21, s44, v16
	v_mad_u64_u32 v[14:15], s[0:1], s44, v3, 0
	v_add3_u32 v15, v15, v21, v17
	v_sub_u32_e32 v17, v19, v15
	v_mov_b32_e32 v21, s45
	v_sub_co_u32_e32 v14, vcc, v20, v14
	v_subb_co_u32_e64 v17, s[0:1], v17, v21, vcc
	v_subrev_co_u32_e64 v20, s[0:1], s44, v14
	v_subbrev_co_u32_e64 v17, s[0:1], 0, v17, s[0:1]
	v_cmp_le_u32_e64 s[0:1], s45, v17
	v_cndmask_b32_e64 v21, 0, -1, s[0:1]
	v_cmp_le_u32_e64 s[0:1], s44, v20
	v_cndmask_b32_e64 v20, 0, -1, s[0:1]
	v_cmp_eq_u32_e64 s[0:1], s45, v17
	v_cndmask_b32_e64 v17, v21, v20, s[0:1]
	v_add_co_u32_e64 v20, s[0:1], 2, v3
	v_subb_co_u32_e32 v15, vcc, v19, v15, vcc
	v_addc_co_u32_e64 v21, s[0:1], 0, v16, s[0:1]
	v_cmp_le_u32_e32 vcc, s45, v15
	v_add_co_u32_e64 v22, s[0:1], 1, v3
	v_cndmask_b32_e64 v19, 0, -1, vcc
	v_cmp_le_u32_e32 vcc, s44, v14
	v_addc_co_u32_e64 v23, s[0:1], 0, v16, s[0:1]
	v_cndmask_b32_e64 v14, 0, -1, vcc
	v_cmp_eq_u32_e32 vcc, s45, v15
	v_cmp_ne_u32_e64 s[0:1], 0, v17
	v_cndmask_b32_e32 v14, v19, v14, vcc
	v_cmp_ne_u32_e32 vcc, 0, v14
	v_cndmask_b32_e64 v15, v22, v20, s[0:1]
	v_cndmask_b32_e64 v17, v23, v21, s[0:1]
	v_cndmask_b32_e32 v3, v3, v15, vcc
	v_xor_b32_e32 v15, s42, v18
	v_cndmask_b32_e32 v14, v16, v17, vcc
	v_xor_b32_e32 v3, v3, v15
	v_xor_b32_e32 v14, v14, v15
	v_sub_co_u32_e32 v16, vcc, v3, v15
	v_subb_co_u32_e32 v17, vcc, v14, v15, vcc
                                        ; implicit-def: $vgpr14_vgpr15
.LBB11_18:                              ;   in Loop: Header=BB11_4 Depth=1
	s_andn2_saveexec_b64 s[0:1], s[2:3]
	s_cbranch_execz .LBB11_20
; %bb.19:                               ;   in Loop: Header=BB11_4 Depth=1
	v_cvt_f32_u32_e32 v3, s12
	s_sub_i32 s2, 0, s12
	v_mov_b32_e32 v17, v2
	v_rcp_iflag_f32_e32 v3, v3
	v_mul_f32_e32 v3, 0x4f7ffffe, v3
	v_cvt_u32_f32_e32 v3, v3
	v_mul_lo_u32 v15, s2, v3
	v_mul_hi_u32 v15, v3, v15
	v_add_u32_e32 v3, v3, v15
	v_mul_hi_u32 v3, v14, v3
	v_mul_lo_u32 v15, v3, s12
	v_sub_u32_e32 v14, v14, v15
	v_add_u32_e32 v16, 1, v3
	v_subrev_u32_e32 v15, s12, v14
	v_cmp_le_u32_e32 vcc, s12, v14
	v_cndmask_b32_e32 v14, v14, v15, vcc
	v_cndmask_b32_e32 v3, v3, v16, vcc
	v_add_u32_e32 v15, 1, v3
	v_cmp_le_u32_e32 vcc, s12, v14
	v_cndmask_b32_e32 v16, v3, v15, vcc
.LBB11_20:                              ;   in Loop: Header=BB11_4 Depth=1
	s_or_b64 exec, exec, s[0:1]
	v_mul_lo_u32 v3, v11, s50
	v_mul_lo_u32 v18, v10, s33
	v_mad_u64_u32 v[14:15], s[0:1], v10, s50, 0
	v_add3_u32 v3, v15, v18, v3
	v_sub_co_u32_e32 v18, vcc, v0, v14
	v_subb_co_u32_e32 v3, vcc, v1, v3, vcc
	v_mul_lo_u32 v19, v17, s12
	v_mul_lo_u32 v20, v16, s13
	v_mad_u64_u32 v[14:15], s[0:1], v16, s12, 0
	v_add3_u32 v15, v15, v20, v19
	v_sub_co_u32_e32 v25, vcc, v18, v14
	v_subb_co_u32_e32 v26, vcc, v3, v15, vcc
	;; [unrolled: 6-line block ×3, first 2 shown]
	v_mul_lo_u32 v20, s13, v3
	v_mul_lo_u32 v21, s12, v24
	v_mad_u64_u32 v[18:19], s[0:1], s12, v3, 0
	v_mad_u64_u32 v[14:15], s[0:1], s12, v3, v[0:1]
	v_add3_u32 v19, v19, v21, v20
	v_add3_u32 v15, v20, v15, v21
	v_cmp_lt_i64_e32 vcc, 0, v[16:17]
	v_cmp_ge_i64_e64 s[0:1], s[18:19], v[16:17]
	s_and_b64 s[46:47], vcc, s[0:1]
	v_cmp_eq_u64_e32 vcc, v[18:19], v[4:5]
	v_cmp_lt_i64_e64 s[0:1], s[4:5], v[14:15]
	s_or_b64 s[42:43], vcc, s[0:1]
	v_cmp_gt_i64_e32 vcc, s[28:29], v[14:15]
	v_cmp_le_i64_e64 s[0:1], s[30:31], v[14:15]
	s_and_b64 s[2:3], vcc, s[0:1]
	v_pk_mov_b32 v[14:15], 0, 0
	s_and_saveexec_b64 s[44:45], s[46:47]
	s_cbranch_execz .LBB11_30
; %bb.21:                               ;   in Loop: Header=BB11_4 Depth=1
	v_mov_b32_e32 v14, s19
	v_sub_co_u32_e32 v22, vcc, s18, v16
	v_subb_co_u32_e32 v14, vcc, v14, v17, vcc
	v_mov_b32_e32 v20, s5
	v_add_co_u32_e32 v21, vcc, s4, v0
	v_mul_lo_u32 v27, v14, s51
	v_mul_lo_u32 v28, v22, s52
	v_mad_u64_u32 v[14:15], s[0:1], v22, s51, v[18:19]
	v_addc_co_u32_e32 v23, vcc, v20, v1, vcc
	v_add3_u32 v15, v27, v15, v28
	v_add_co_u32_e32 v20, vcc, v21, v14
	v_addc_co_u32_e32 v21, vcc, v23, v15, vcc
	v_cmp_gt_i64_e32 vcc, s[20:21], v[20:21]
	v_pk_mov_b32 v[14:15], 0, 0
	s_and_saveexec_b64 s[0:1], vcc
	s_cbranch_execz .LBB11_23
; %bb.22:                               ;   in Loop: Header=BB11_4 Depth=1
	v_mul_lo_u32 v23, s55, v8
	v_mul_lo_u32 v29, s56, v9
	v_mad_u64_u32 v[14:15], s[46:47], s56, v8, 0
	v_add3_u32 v15, v15, v29, v23
	v_mul_lo_u32 v23, v13, s20
	v_mul_lo_u32 v29, v12, s21
	v_mad_u64_u32 v[30:31], s[46:47], v12, s20, 0
	v_lshlrev_b64 v[14:15], 3, v[14:15]
	v_add3_u32 v31, v31, v29, v23
	v_mov_b32_e32 v23, s11
	v_add_co_u32_e32 v29, vcc, s10, v14
	v_addc_co_u32_e32 v23, vcc, v23, v15, vcc
	v_lshlrev_b64 v[14:15], 3, v[30:31]
	v_add_co_u32_e32 v29, vcc, v29, v14
	v_addc_co_u32_e32 v23, vcc, v23, v15, vcc
	v_lshlrev_b64 v[14:15], 3, v[20:21]
	v_add_co_u32_e32 v14, vcc, v29, v14
	v_addc_co_u32_e32 v15, vcc, v23, v15, vcc
	global_load_dwordx2 v[14:15], v[14:15], off
	s_waitcnt vmcnt(0)
	v_add_f64 v[14:15], v[14:15], 0
.LBB11_23:                              ;   in Loop: Header=BB11_4 Depth=1
	s_or_b64 exec, exec, s[0:1]
	v_mad_u64_u32 v[22:23], s[0:1], v22, s51, 0
	v_add3_u32 v23, v23, v28, v27
	s_mov_b64 s[48:49], 0
                                        ; implicit-def: $vgpr20_vgpr21
	s_and_saveexec_b64 s[0:1], s[42:43]
	s_xor_b64 s[46:47], exec, s[0:1]
	s_cbranch_execz .LBB11_49
; %bb.24:                               ;   in Loop: Header=BB11_4 Depth=1
	s_mov_b64 s[0:1], 0
                                        ; implicit-def: $vgpr20_vgpr21
	s_and_saveexec_b64 s[48:49], s[2:3]
	s_xor_b64 s[48:49], exec, s[48:49]
	s_cbranch_execz .LBB11_26
; %bb.25:                               ;   in Loop: Header=BB11_4 Depth=1
	v_mov_b32_e32 v20, s58
	v_sub_co_u32_e32 v21, vcc, s57, v25
	v_subb_co_u32_e32 v27, vcc, v20, v26, vcc
	v_add_co_u32_e32 v20, vcc, v21, v22
	v_addc_co_u32_e32 v21, vcc, v27, v23, vcc
	v_mad_u64_u32 v[28:29], s[0:1], s14, v10, v[16:17]
	v_mul_lo_u32 v27, s14, v11
	v_mul_lo_u32 v30, s15, v10
	v_add3_u32 v27, v30, v29, v27
	v_add_co_u32_e32 v28, vcc, 2, v28
	v_addc_co_u32_e32 v27, vcc, 0, v27, vcc
	v_mul_lo_u32 v27, s12, v27
	v_mul_lo_u32 v29, s13, v28
	v_mad_u64_u32 v[22:23], s[0:1], s12, v28, v[22:23]
	v_add3_u32 v23, v29, v23, v27
	v_mov_b32_e32 v27, s5
	v_add_co_u32_e32 v28, vcc, s4, v4
	v_addc_co_u32_e32 v27, vcc, v27, v5, vcc
	v_add_co_u32_e32 v22, vcc, v28, v22
	v_addc_co_u32_e32 v23, vcc, v27, v23, vcc
	v_add_co_u32_e32 v22, vcc, -2, v22
	v_addc_co_u32_e32 v23, vcc, -1, v23, vcc
	v_cmp_lt_i64_e32 vcc, -1, v[22:23]
	v_cmp_gt_i64_e64 s[0:1], s[20:21], v[22:23]
	s_and_b64 s[0:1], vcc, s[0:1]
	s_and_b64 s[0:1], s[0:1], exec
.LBB11_26:                              ;   in Loop: Header=BB11_4 Depth=1
	s_or_b64 exec, exec, s[48:49]
	s_and_b64 s[48:49], s[0:1], exec
                                        ; implicit-def: $vgpr22_vgpr23
	s_andn2_saveexec_b64 s[46:47], s[46:47]
	s_cbranch_execnz .LBB11_50
.LBB11_27:                              ;   in Loop: Header=BB11_4 Depth=1
	s_or_b64 exec, exec, s[46:47]
	s_and_saveexec_b64 s[0:1], s[48:49]
	s_cbranch_execz .LBB11_29
.LBB11_28:                              ;   in Loop: Header=BB11_4 Depth=1
	v_mul_lo_u32 v27, s55, v8
	v_mul_lo_u32 v28, s56, v9
	v_mad_u64_u32 v[22:23], s[46:47], s56, v8, 0
	v_add3_u32 v23, v23, v28, v27
	v_mul_lo_u32 v27, v13, s20
	v_mul_lo_u32 v30, v12, s21
	v_mad_u64_u32 v[28:29], s[46:47], v12, s20, 0
	v_lshlrev_b64 v[22:23], 3, v[22:23]
	v_add3_u32 v29, v29, v30, v27
	v_mov_b32_e32 v27, s11
	v_add_co_u32_e32 v30, vcc, s10, v22
	v_addc_co_u32_e32 v27, vcc, v27, v23, vcc
	v_lshlrev_b64 v[22:23], 3, v[28:29]
	v_add_co_u32_e32 v22, vcc, v30, v22
	v_addc_co_u32_e32 v23, vcc, v27, v23, vcc
	v_lshlrev_b64 v[20:21], 3, v[20:21]
	v_add_co_u32_e32 v20, vcc, v22, v20
	v_addc_co_u32_e32 v21, vcc, v23, v21, vcc
	global_load_dwordx2 v[20:21], v[20:21], off
	s_waitcnt vmcnt(0)
	v_add_f64 v[14:15], v[14:15], v[20:21]
.LBB11_29:                              ;   in Loop: Header=BB11_4 Depth=1
	s_or_b64 exec, exec, s[0:1]
.LBB11_30:                              ;   in Loop: Header=BB11_4 Depth=1
	s_or_b64 exec, exec, s[44:45]
	v_cmp_gt_i64_e32 vcc, s[24:25], v[16:17]
	v_cmp_le_i64_e64 s[0:1], s[26:27], v[16:17]
	s_and_b64 s[0:1], vcc, s[0:1]
	s_and_saveexec_b64 s[44:45], s[0:1]
	s_cbranch_execz .LBB11_40
; %bb.31:                               ;   in Loop: Header=BB11_4 Depth=1
	v_mov_b32_e32 v20, s60
	v_sub_co_u32_e32 v22, vcc, s59, v16
	v_subb_co_u32_e32 v20, vcc, v20, v17, vcc
	v_mov_b32_e32 v23, s5
	v_add_co_u32_e32 v29, vcc, s4, v0
	v_mul_lo_u32 v27, s52, v22
	v_mul_lo_u32 v28, s51, v20
	v_mad_u64_u32 v[20:21], s[0:1], s51, v22, v[18:19]
	v_addc_co_u32_e32 v23, vcc, v23, v1, vcc
	v_add3_u32 v21, v27, v21, v28
	v_add_co_u32_e32 v20, vcc, v29, v20
	v_addc_co_u32_e32 v21, vcc, v23, v21, vcc
	v_cmp_lt_i64_e32 vcc, -1, v[20:21]
	v_cmp_gt_i64_e64 s[0:1], s[20:21], v[20:21]
	s_and_b64 s[46:47], vcc, s[0:1]
	s_and_saveexec_b64 s[0:1], s[46:47]
	s_cbranch_execz .LBB11_33
; %bb.32:                               ;   in Loop: Header=BB11_4 Depth=1
	v_mul_lo_u32 v23, s55, v8
	v_mul_lo_u32 v29, s56, v9
	v_mad_u64_u32 v[30:31], s[46:47], s56, v8, 0
	v_add3_u32 v31, v31, v29, v23
	v_mul_lo_u32 v23, v13, s20
	v_mul_lo_u32 v29, v12, s21
	v_mad_u64_u32 v[32:33], s[46:47], v12, s20, 0
	v_lshlrev_b64 v[30:31], 3, v[30:31]
	v_add3_u32 v33, v33, v29, v23
	v_mov_b32_e32 v23, s11
	v_add_co_u32_e32 v29, vcc, s10, v30
	v_addc_co_u32_e32 v23, vcc, v23, v31, vcc
	v_lshlrev_b64 v[30:31], 3, v[32:33]
	v_add_co_u32_e32 v29, vcc, v29, v30
	v_addc_co_u32_e32 v23, vcc, v23, v31, vcc
	v_lshlrev_b64 v[20:21], 3, v[20:21]
	v_add_co_u32_e32 v20, vcc, v29, v20
	v_addc_co_u32_e32 v21, vcc, v23, v21, vcc
	global_load_dwordx2 v[20:21], v[20:21], off
	s_waitcnt vmcnt(0)
	v_add_f64 v[14:15], v[14:15], v[20:21]
.LBB11_33:                              ;   in Loop: Header=BB11_4 Depth=1
	s_or_b64 exec, exec, s[0:1]
	v_mad_u64_u32 v[22:23], s[0:1], s51, v22, 0
	v_add3_u32 v23, v23, v28, v27
	s_mov_b64 s[48:49], 0
                                        ; implicit-def: $vgpr20_vgpr21
	s_and_saveexec_b64 s[0:1], s[42:43]
	s_xor_b64 s[46:47], exec, s[0:1]
	s_cbranch_execz .LBB11_51
; %bb.34:                               ;   in Loop: Header=BB11_4 Depth=1
	s_mov_b64 s[0:1], 0
                                        ; implicit-def: $vgpr20_vgpr21
	s_and_saveexec_b64 s[48:49], s[2:3]
	s_xor_b64 s[48:49], exec, s[48:49]
	s_cbranch_execz .LBB11_36
; %bb.35:                               ;   in Loop: Header=BB11_4 Depth=1
	v_mov_b32_e32 v20, s62
	v_add_co_u32_e32 v21, vcc, s61, v22
	v_addc_co_u32_e32 v27, vcc, v20, v23, vcc
	v_sub_co_u32_e32 v20, vcc, v21, v25
	v_subb_co_u32_e32 v21, vcc, v27, v26, vcc
	v_mad_u64_u32 v[26:27], s[0:1], s14, v10, v[16:17]
	v_mul_lo_u32 v25, s14, v11
	v_mul_lo_u32 v28, s15, v10
	v_add3_u32 v25, v28, v27, v25
	v_add_co_u32_e32 v26, vcc, 2, v26
	v_addc_co_u32_e32 v25, vcc, 0, v25, vcc
	v_mul_lo_u32 v25, s12, v25
	v_mul_lo_u32 v27, s13, v26
	v_mad_u64_u32 v[22:23], s[0:1], s12, v26, v[22:23]
	v_add3_u32 v23, v27, v23, v25
	v_mov_b32_e32 v25, s5
	v_add_co_u32_e32 v26, vcc, s4, v4
	v_addc_co_u32_e32 v25, vcc, v25, v5, vcc
	v_add_co_u32_e32 v22, vcc, v26, v22
	v_addc_co_u32_e32 v23, vcc, v25, v23, vcc
	v_add_co_u32_e32 v22, vcc, -2, v22
	v_addc_co_u32_e32 v23, vcc, -1, v23, vcc
	v_cmp_lt_i64_e32 vcc, -1, v[22:23]
	v_cmp_gt_i64_e64 s[0:1], s[20:21], v[22:23]
	s_and_b64 s[0:1], vcc, s[0:1]
	s_and_b64 s[0:1], s[0:1], exec
.LBB11_36:                              ;   in Loop: Header=BB11_4 Depth=1
	s_or_b64 exec, exec, s[48:49]
	s_and_b64 s[48:49], s[0:1], exec
                                        ; implicit-def: $vgpr22_vgpr23
	s_andn2_saveexec_b64 s[46:47], s[46:47]
	s_cbranch_execnz .LBB11_52
.LBB11_37:                              ;   in Loop: Header=BB11_4 Depth=1
	s_or_b64 exec, exec, s[46:47]
	s_and_saveexec_b64 s[0:1], s[48:49]
	s_cbranch_execz .LBB11_39
.LBB11_38:                              ;   in Loop: Header=BB11_4 Depth=1
	v_mul_lo_u32 v25, s55, v8
	v_mul_lo_u32 v26, s56, v9
	v_mad_u64_u32 v[22:23], s[46:47], s56, v8, 0
	v_add3_u32 v23, v23, v26, v25
	v_mul_lo_u32 v25, v13, s20
	v_mul_lo_u32 v28, v12, s21
	v_mad_u64_u32 v[26:27], s[46:47], v12, s20, 0
	v_lshlrev_b64 v[22:23], 3, v[22:23]
	v_add3_u32 v27, v27, v28, v25
	v_mov_b32_e32 v25, s11
	v_add_co_u32_e32 v28, vcc, s10, v22
	v_addc_co_u32_e32 v25, vcc, v25, v23, vcc
	v_lshlrev_b64 v[22:23], 3, v[26:27]
	v_add_co_u32_e32 v22, vcc, v28, v22
	v_addc_co_u32_e32 v23, vcc, v25, v23, vcc
	v_lshlrev_b64 v[20:21], 3, v[20:21]
	v_add_co_u32_e32 v20, vcc, v22, v20
	v_addc_co_u32_e32 v21, vcc, v23, v21, vcc
	global_load_dwordx2 v[20:21], v[20:21], off
	s_waitcnt vmcnt(0)
	v_add_f64 v[14:15], v[14:15], v[20:21]
.LBB11_39:                              ;   in Loop: Header=BB11_4 Depth=1
	s_or_b64 exec, exec, s[0:1]
.LBB11_40:                              ;   in Loop: Header=BB11_4 Depth=1
	s_or_b64 exec, exec, s[44:45]
                                        ; implicit-def: $vgpr20_vgpr21
	s_and_saveexec_b64 s[0:1], s[42:43]
	s_xor_b64 s[0:1], exec, s[0:1]
	s_cbranch_execz .LBB11_43
; %bb.41:                               ;   in Loop: Header=BB11_4 Depth=1
	v_mov_b32_e32 v18, s19
	v_add_co_u32_e32 v19, vcc, s18, v16
	v_addc_co_u32_e32 v18, vcc, v17, v18, vcc
	v_mul_lo_u32 v18, v18, s51
	v_mul_lo_u32 v22, v19, s52
	v_mad_u64_u32 v[20:21], s[42:43], v19, s51, 0
	v_add3_u32 v21, v21, v22, v18
                                        ; implicit-def: $vgpr18_vgpr19
	s_andn2_saveexec_b64 s[42:43], s[0:1]
	s_cbranch_execnz .LBB11_44
.LBB11_42:                              ;   in Loop: Header=BB11_4 Depth=1
	s_or_b64 exec, exec, s[42:43]
	s_and_saveexec_b64 s[42:43], s[2:3]
	s_cbranch_execz .LBB11_3
	s_branch .LBB11_47
.LBB11_43:                              ;   in Loop: Header=BB11_4 Depth=1
	s_andn2_saveexec_b64 s[42:43], s[0:1]
	s_cbranch_execz .LBB11_42
.LBB11_44:                              ;   in Loop: Header=BB11_4 Depth=1
	v_mov_b32_e32 v20, s19
	v_add_co_u32_e32 v21, vcc, s18, v16
	v_addc_co_u32_e32 v20, vcc, v17, v20, vcc
	v_mul_lo_u32 v22, v20, s51
	v_mul_lo_u32 v23, v21, s52
	v_mad_u64_u32 v[20:21], s[0:1], v21, s51, 0
	v_add3_u32 v21, v21, v23, v22
	v_sub_co_u32_e32 v18, vcc, v20, v18
	v_subb_co_u32_e32 v19, vcc, v21, v19, vcc
	v_mov_b32_e32 v22, s5
	v_add_co_u32_e32 v23, vcc, s4, v4
	v_addc_co_u32_e32 v22, vcc, v22, v5, vcc
	v_add_co_u32_e32 v18, vcc, v23, v18
	v_addc_co_u32_e32 v19, vcc, v22, v19, vcc
	v_cmp_lt_i64_e32 vcc, -1, v[18:19]
	v_cmp_gt_i64_e64 s[0:1], s[20:21], v[18:19]
	s_and_b64 s[44:45], vcc, s[0:1]
	s_and_saveexec_b64 s[0:1], s[44:45]
	s_cbranch_execz .LBB11_46
; %bb.45:                               ;   in Loop: Header=BB11_4 Depth=1
	v_mul_lo_u32 v25, s55, v8
	v_mul_lo_u32 v26, s56, v9
	v_mad_u64_u32 v[22:23], s[44:45], s56, v8, 0
	v_add3_u32 v23, v23, v26, v25
	v_mul_lo_u32 v25, v13, s20
	v_mul_lo_u32 v28, v12, s21
	v_mad_u64_u32 v[26:27], s[44:45], v12, s20, 0
	v_lshlrev_b64 v[22:23], 3, v[22:23]
	v_add3_u32 v27, v27, v28, v25
	v_mov_b32_e32 v25, s11
	v_add_co_u32_e32 v28, vcc, s10, v22
	v_addc_co_u32_e32 v25, vcc, v25, v23, vcc
	v_lshlrev_b64 v[22:23], 3, v[26:27]
	v_add_co_u32_e32 v22, vcc, v28, v22
	v_addc_co_u32_e32 v23, vcc, v25, v23, vcc
	v_lshlrev_b64 v[18:19], 3, v[18:19]
	v_add_co_u32_e32 v18, vcc, v22, v18
	v_addc_co_u32_e32 v19, vcc, v23, v19, vcc
	global_load_dwordx2 v[18:19], v[18:19], off
	s_waitcnt vmcnt(0)
	v_add_f64 v[14:15], v[14:15], v[18:19]
.LBB11_46:                              ;   in Loop: Header=BB11_4 Depth=1
	s_or_b64 exec, exec, s[0:1]
	s_or_b64 exec, exec, s[42:43]
	s_and_saveexec_b64 s[42:43], s[2:3]
	s_cbranch_execz .LBB11_3
.LBB11_47:                              ;   in Loop: Header=BB11_4 Depth=1
	v_mad_u64_u32 v[16:17], s[0:1], s14, v10, v[16:17]
	v_mul_lo_u32 v11, s14, v11
	v_mul_lo_u32 v10, s15, v10
	v_add3_u32 v10, v10, v17, v11
	v_add_co_u32_e32 v11, vcc, 2, v16
	v_addc_co_u32_e32 v10, vcc, 0, v10, vcc
	v_mul_lo_u32 v16, s12, v10
	v_mul_lo_u32 v17, s13, v11
	v_mad_u64_u32 v[10:11], s[0:1], s12, v11, v[20:21]
	v_add3_u32 v11, v17, v11, v16
	v_mov_b32_e32 v16, s5
	v_add_co_u32_e32 v17, vcc, s4, v4
	v_addc_co_u32_e32 v16, vcc, v16, v5, vcc
	v_add_co_u32_e32 v10, vcc, v17, v10
	v_addc_co_u32_e32 v11, vcc, v16, v11, vcc
	v_add_co_u32_e32 v10, vcc, -2, v10
	v_addc_co_u32_e32 v11, vcc, -1, v11, vcc
	v_cmp_lt_i64_e32 vcc, -1, v[10:11]
	v_cmp_gt_i64_e64 s[0:1], s[20:21], v[10:11]
	s_and_b64 s[2:3], vcc, s[0:1]
	s_and_saveexec_b64 s[0:1], s[2:3]
	s_cbranch_execz .LBB11_2
; %bb.48:                               ;   in Loop: Header=BB11_4 Depth=1
	v_mul_lo_u32 v18, s55, v8
	v_mul_lo_u32 v19, s56, v9
	v_mad_u64_u32 v[16:17], s[2:3], s56, v8, 0
	v_add3_u32 v17, v17, v19, v18
	v_mul_lo_u32 v22, v13, s20
	v_mul_lo_u32 v23, v12, s21
	v_mad_u64_u32 v[18:19], s[2:3], v12, s20, 0
	v_lshlrev_b64 v[16:17], 3, v[16:17]
	v_add3_u32 v19, v19, v23, v22
	v_mov_b32_e32 v22, s11
	v_add_co_u32_e32 v23, vcc, s10, v16
	v_addc_co_u32_e32 v22, vcc, v22, v17, vcc
	v_lshlrev_b64 v[16:17], 3, v[18:19]
	v_add_co_u32_e32 v16, vcc, v23, v16
	v_addc_co_u32_e32 v17, vcc, v22, v17, vcc
	v_lshlrev_b64 v[10:11], 3, v[10:11]
	v_add_co_u32_e32 v10, vcc, v16, v10
	v_addc_co_u32_e32 v11, vcc, v17, v11, vcc
	global_load_dwordx2 v[10:11], v[10:11], off
	s_waitcnt vmcnt(0)
	v_add_f64 v[14:15], v[14:15], v[10:11]
	s_branch .LBB11_2
.LBB11_49:                              ;   in Loop: Header=BB11_4 Depth=1
	s_andn2_saveexec_b64 s[46:47], s[46:47]
	s_cbranch_execz .LBB11_27
.LBB11_50:                              ;   in Loop: Header=BB11_4 Depth=1
	v_sub_co_u32_e32 v20, vcc, v22, v18
	v_subb_co_u32_e32 v21, vcc, v23, v19, vcc
	v_mov_b32_e32 v22, s5
	v_add_co_u32_e32 v23, vcc, s4, v4
	v_addc_co_u32_e32 v22, vcc, v22, v5, vcc
	v_add_co_u32_e32 v20, vcc, v23, v20
	v_addc_co_u32_e32 v21, vcc, v22, v21, vcc
	v_cmp_lt_i64_e32 vcc, -1, v[20:21]
	v_cmp_gt_i64_e64 s[0:1], s[20:21], v[20:21]
	s_and_b64 s[0:1], vcc, s[0:1]
	s_andn2_b64 s[48:49], s[48:49], exec
	s_and_b64 s[0:1], s[0:1], exec
	s_or_b64 s[48:49], s[48:49], s[0:1]
	s_or_b64 exec, exec, s[46:47]
	s_and_saveexec_b64 s[0:1], s[48:49]
	s_cbranch_execnz .LBB11_28
	s_branch .LBB11_29
.LBB11_51:                              ;   in Loop: Header=BB11_4 Depth=1
	s_andn2_saveexec_b64 s[46:47], s[46:47]
	s_cbranch_execz .LBB11_37
.LBB11_52:                              ;   in Loop: Header=BB11_4 Depth=1
	v_sub_co_u32_e32 v20, vcc, v22, v18
	v_subb_co_u32_e32 v21, vcc, v23, v19, vcc
	v_mov_b32_e32 v22, s5
	v_add_co_u32_e32 v23, vcc, s4, v4
	v_addc_co_u32_e32 v22, vcc, v22, v5, vcc
	v_add_co_u32_e32 v20, vcc, v23, v20
	v_addc_co_u32_e32 v21, vcc, v22, v21, vcc
	v_cmp_lt_i64_e32 vcc, -1, v[20:21]
	v_cmp_gt_i64_e64 s[0:1], s[20:21], v[20:21]
	s_and_b64 s[0:1], vcc, s[0:1]
	s_andn2_b64 s[48:49], s[48:49], exec
	s_and_b64 s[0:1], s[0:1], exec
	s_or_b64 s[48:49], s[48:49], s[0:1]
	s_or_b64 exec, exec, s[46:47]
	s_and_saveexec_b64 s[0:1], s[48:49]
	s_cbranch_execnz .LBB11_38
	s_branch .LBB11_39
.LBB11_53:
	s_endpgm
	.section	.rodata,"a",@progbits
	.p2align	6, 0x0
	.amdhsa_kernel _ZN2at6native12_GLOBAL__N_140reflection_pad2d_backward_det_out_kernelIdEEvPT_PKS3_lliiiiiii
		.amdhsa_group_segment_fixed_size 0
		.amdhsa_private_segment_fixed_size 0
		.amdhsa_kernarg_size 320
		.amdhsa_user_sgpr_count 6
		.amdhsa_user_sgpr_private_segment_buffer 1
		.amdhsa_user_sgpr_dispatch_ptr 0
		.amdhsa_user_sgpr_queue_ptr 0
		.amdhsa_user_sgpr_kernarg_segment_ptr 1
		.amdhsa_user_sgpr_dispatch_id 0
		.amdhsa_user_sgpr_flat_scratch_init 0
		.amdhsa_user_sgpr_kernarg_preload_length 0
		.amdhsa_user_sgpr_kernarg_preload_offset 0
		.amdhsa_user_sgpr_private_segment_size 0
		.amdhsa_uses_dynamic_stack 0
		.amdhsa_system_sgpr_private_segment_wavefront_offset 0
		.amdhsa_system_sgpr_workgroup_id_x 1
		.amdhsa_system_sgpr_workgroup_id_y 0
		.amdhsa_system_sgpr_workgroup_id_z 0
		.amdhsa_system_sgpr_workgroup_info 0
		.amdhsa_system_vgpr_workitem_id 0
		.amdhsa_next_free_vgpr 34
		.amdhsa_next_free_sgpr 69
		.amdhsa_accum_offset 36
		.amdhsa_reserve_vcc 1
		.amdhsa_reserve_flat_scratch 0
		.amdhsa_float_round_mode_32 0
		.amdhsa_float_round_mode_16_64 0
		.amdhsa_float_denorm_mode_32 3
		.amdhsa_float_denorm_mode_16_64 3
		.amdhsa_dx10_clamp 1
		.amdhsa_ieee_mode 1
		.amdhsa_fp16_overflow 0
		.amdhsa_tg_split 0
		.amdhsa_exception_fp_ieee_invalid_op 0
		.amdhsa_exception_fp_denorm_src 0
		.amdhsa_exception_fp_ieee_div_zero 0
		.amdhsa_exception_fp_ieee_overflow 0
		.amdhsa_exception_fp_ieee_underflow 0
		.amdhsa_exception_fp_ieee_inexact 0
		.amdhsa_exception_int_div_zero 0
	.end_amdhsa_kernel
	.section	.text._ZN2at6native12_GLOBAL__N_140reflection_pad2d_backward_det_out_kernelIdEEvPT_PKS3_lliiiiiii,"axG",@progbits,_ZN2at6native12_GLOBAL__N_140reflection_pad2d_backward_det_out_kernelIdEEvPT_PKS3_lliiiiiii,comdat
.Lfunc_end11:
	.size	_ZN2at6native12_GLOBAL__N_140reflection_pad2d_backward_det_out_kernelIdEEvPT_PKS3_lliiiiiii, .Lfunc_end11-_ZN2at6native12_GLOBAL__N_140reflection_pad2d_backward_det_out_kernelIdEEvPT_PKS3_lliiiiiii
                                        ; -- End function
	.section	.AMDGPU.csdata,"",@progbits
; Kernel info:
; codeLenInByte = 6124
; NumSgprs: 73
; NumVgprs: 34
; NumAgprs: 0
; TotalNumVgprs: 34
; ScratchSize: 0
; MemoryBound: 0
; FloatMode: 240
; IeeeMode: 1
; LDSByteSize: 0 bytes/workgroup (compile time only)
; SGPRBlocks: 9
; VGPRBlocks: 4
; NumSGPRsForWavesPerEU: 73
; NumVGPRsForWavesPerEU: 34
; AccumOffset: 36
; Occupancy: 8
; WaveLimiterHint : 0
; COMPUTE_PGM_RSRC2:SCRATCH_EN: 0
; COMPUTE_PGM_RSRC2:USER_SGPR: 6
; COMPUTE_PGM_RSRC2:TRAP_HANDLER: 0
; COMPUTE_PGM_RSRC2:TGID_X_EN: 1
; COMPUTE_PGM_RSRC2:TGID_Y_EN: 0
; COMPUTE_PGM_RSRC2:TGID_Z_EN: 0
; COMPUTE_PGM_RSRC2:TIDIG_COMP_CNT: 0
; COMPUTE_PGM_RSRC3_GFX90A:ACCUM_OFFSET: 8
; COMPUTE_PGM_RSRC3_GFX90A:TG_SPLIT: 0
	.section	.text._ZN2at6native12_GLOBAL__N_136reflection_pad2d_backward_out_kernelIdEEvPT_PKS3_lliiiiiii,"axG",@progbits,_ZN2at6native12_GLOBAL__N_136reflection_pad2d_backward_out_kernelIdEEvPT_PKS3_lliiiiiii,comdat
	.globl	_ZN2at6native12_GLOBAL__N_136reflection_pad2d_backward_out_kernelIdEEvPT_PKS3_lliiiiiii ; -- Begin function _ZN2at6native12_GLOBAL__N_136reflection_pad2d_backward_out_kernelIdEEvPT_PKS3_lliiiiiii
	.p2align	8
	.type	_ZN2at6native12_GLOBAL__N_136reflection_pad2d_backward_out_kernelIdEEvPT_PKS3_lliiiiiii,@function
_ZN2at6native12_GLOBAL__N_136reflection_pad2d_backward_out_kernelIdEEvPT_PKS3_lliiiiiii: ; @_ZN2at6native12_GLOBAL__N_136reflection_pad2d_backward_out_kernelIdEEvPT_PKS3_lliiiiiii
; %bb.0:
	s_load_dword s0, s[4:5], 0x4c
	s_load_dwordx4 s[20:23], s[4:5], 0x20
	s_load_dwordx8 s[12:19], s[4:5], 0x0
	v_mov_b32_e32 v1, 0
	s_waitcnt lgkmcnt(0)
	s_and_b32 s0, s0, 0xffff
	s_mul_i32 s6, s6, s0
	s_ashr_i32 s3, s22, 31
	v_add_u32_e32 v0, s6, v0
	s_add_u32 s6, s22, s16
	s_addc_u32 s9, s3, s17
	s_ashr_i32 s0, s23, 31
	s_add_u32 s33, s6, s23
	s_addc_u32 s25, s9, s0
	s_ashr_i32 s11, s20, 31
	;; [unrolled: 3-line block ×3, first 2 shown]
	s_add_u32 s34, s30, s21
	s_addc_u32 s35, s31, s0
	s_mul_i32 s0, s33, s35
	s_mul_hi_u32 s1, s33, s34
	s_add_i32 s0, s1, s0
	s_mul_i32 s1, s25, s34
	s_add_i32 s1, s0, s1
	s_mul_i32 s0, s33, s34
	v_cmp_gt_i64_e32 vcc, s[0:1], v[0:1]
	s_and_saveexec_b64 s[0:1], vcc
	s_cbranch_execz .LBB12_5
; %bb.1:
	s_mov_b32 s2, s22
	s_mov_b32 s10, s20
	s_load_dwordx4 s[20:23], s[4:5], 0x30
	s_mov_b32 s24, 0
	s_cmp_lg_u64 s[24:25], 0
	s_cbranch_scc0 .LBB12_6
; %bb.2:
	s_ashr_i32 s26, s25, 31
	s_add_u32 s0, s33, s26
	s_mov_b32 s27, s26
	s_addc_u32 s1, s25, s26
	s_xor_b64 s[28:29], s[0:1], s[26:27]
	v_cvt_f32_u32_e32 v1, s28
	v_cvt_f32_u32_e32 v2, s29
	s_sub_u32 s0, 0, s28
	s_subb_u32 s1, 0, s29
	v_madmk_f32 v1, v2, 0x4f800000, v1
	v_rcp_f32_e32 v1, v1
	v_mul_f32_e32 v1, 0x5f7ffffc, v1
	v_mul_f32_e32 v2, 0x2f800000, v1
	v_trunc_f32_e32 v2, v2
	v_madmk_f32 v1, v2, 0xcf800000, v1
	v_cvt_u32_f32_e32 v2, v2
	v_cvt_u32_f32_e32 v1, v1
	v_mul_lo_u32 v3, s0, v2
	v_mul_hi_u32 v5, s0, v1
	v_mul_lo_u32 v4, s1, v1
	v_add_u32_e32 v3, v5, v3
	v_add_u32_e32 v3, v3, v4
	v_mul_lo_u32 v6, s0, v1
	v_mul_lo_u32 v5, v1, v3
	v_mul_hi_u32 v7, v1, v6
	v_mul_hi_u32 v4, v1, v3
	v_add_co_u32_e32 v5, vcc, v7, v5
	v_addc_co_u32_e32 v4, vcc, 0, v4, vcc
	v_mul_hi_u32 v8, v2, v6
	v_mul_lo_u32 v6, v2, v6
	v_add_co_u32_e32 v5, vcc, v5, v6
	v_mul_hi_u32 v7, v2, v3
	v_addc_co_u32_e32 v4, vcc, v4, v8, vcc
	v_addc_co_u32_e32 v5, vcc, 0, v7, vcc
	v_mul_lo_u32 v3, v2, v3
	v_add_co_u32_e32 v3, vcc, v4, v3
	v_addc_co_u32_e32 v4, vcc, 0, v5, vcc
	v_add_co_u32_e32 v1, vcc, v1, v3
	v_addc_co_u32_e32 v2, vcc, v2, v4, vcc
	v_mul_lo_u32 v3, s0, v2
	v_mul_hi_u32 v4, s0, v1
	v_add_u32_e32 v3, v4, v3
	v_mul_lo_u32 v4, s1, v1
	v_add_u32_e32 v3, v3, v4
	v_mul_lo_u32 v5, s0, v1
	v_mul_hi_u32 v6, v2, v5
	v_mul_lo_u32 v7, v2, v5
	v_mul_lo_u32 v9, v1, v3
	v_mul_hi_u32 v5, v1, v5
	v_mul_hi_u32 v8, v1, v3
	v_add_co_u32_e32 v5, vcc, v5, v9
	v_addc_co_u32_e32 v8, vcc, 0, v8, vcc
	v_add_co_u32_e32 v5, vcc, v5, v7
	v_mul_hi_u32 v4, v2, v3
	v_addc_co_u32_e32 v5, vcc, v8, v6, vcc
	v_addc_co_u32_e32 v4, vcc, 0, v4, vcc
	v_mul_lo_u32 v3, v2, v3
	v_add_co_u32_e32 v3, vcc, v5, v3
	v_addc_co_u32_e32 v4, vcc, 0, v4, vcc
	v_add_co_u32_e32 v1, vcc, v1, v3
	v_addc_co_u32_e32 v4, vcc, v2, v4, vcc
	v_ashrrev_i32_e64 v6, 31, 0
	v_add_co_u32_e32 v2, vcc, v0, v6
	v_addc_co_u32_e32 v3, vcc, 0, v6, vcc
	v_xor_b32_e32 v8, v2, v6
	v_xor_b32_e32 v7, v3, v6
	v_mad_u64_u32 v[2:3], s[0:1], v8, v4, 0
	v_mul_hi_u32 v5, v8, v1
	v_add_co_u32_e32 v9, vcc, v5, v2
	v_addc_co_u32_e32 v10, vcc, 0, v3, vcc
	v_mad_u64_u32 v[2:3], s[0:1], v7, v4, 0
	v_mad_u64_u32 v[4:5], s[0:1], v7, v1, 0
	v_add_co_u32_e32 v1, vcc, v9, v4
	v_addc_co_u32_e32 v1, vcc, v10, v5, vcc
	v_addc_co_u32_e32 v3, vcc, 0, v3, vcc
	v_add_co_u32_e32 v1, vcc, v1, v2
	v_addc_co_u32_e32 v4, vcc, 0, v3, vcc
	v_mul_lo_u32 v5, s29, v1
	v_mul_lo_u32 v9, s28, v4
	v_mad_u64_u32 v[2:3], s[0:1], s28, v1, 0
	v_add3_u32 v3, v3, v9, v5
	v_sub_u32_e32 v5, v7, v3
	v_mov_b32_e32 v9, s29
	v_sub_co_u32_e32 v2, vcc, v8, v2
	v_subb_co_u32_e64 v5, s[0:1], v5, v9, vcc
	v_subrev_co_u32_e64 v8, s[0:1], s28, v2
	v_subbrev_co_u32_e64 v5, s[0:1], 0, v5, s[0:1]
	v_cmp_le_u32_e64 s[0:1], s29, v5
	v_cndmask_b32_e64 v9, 0, -1, s[0:1]
	v_cmp_le_u32_e64 s[0:1], s28, v8
	v_cndmask_b32_e64 v8, 0, -1, s[0:1]
	v_cmp_eq_u32_e64 s[0:1], s29, v5
	v_cndmask_b32_e64 v5, v9, v8, s[0:1]
	v_add_co_u32_e64 v8, s[0:1], 2, v1
	v_subb_co_u32_e32 v3, vcc, v7, v3, vcc
	v_addc_co_u32_e64 v9, s[0:1], 0, v4, s[0:1]
	v_cmp_le_u32_e32 vcc, s29, v3
	v_add_co_u32_e64 v10, s[0:1], 1, v1
	v_cndmask_b32_e64 v7, 0, -1, vcc
	v_cmp_le_u32_e32 vcc, s28, v2
	v_addc_co_u32_e64 v11, s[0:1], 0, v4, s[0:1]
	v_cndmask_b32_e64 v2, 0, -1, vcc
	v_cmp_eq_u32_e32 vcc, s29, v3
	v_cmp_ne_u32_e64 s[0:1], 0, v5
	v_cndmask_b32_e32 v2, v7, v2, vcc
	v_cmp_ne_u32_e32 vcc, 0, v2
	v_cndmask_b32_e64 v3, v10, v8, s[0:1]
	v_cndmask_b32_e64 v5, v11, v9, s[0:1]
	v_cndmask_b32_e32 v1, v1, v3, vcc
	v_xor_b32_e32 v3, s26, v6
	v_cndmask_b32_e32 v2, v4, v5, vcc
	v_xor_b32_e32 v1, v1, v3
	v_xor_b32_e32 v4, v2, v3
	v_sub_co_u32_e32 v2, vcc, v1, v3
	v_subb_co_u32_e32 v3, vcc, v4, v3, vcc
	s_cbranch_execnz .LBB12_4
.LBB12_3:
	v_cvt_f32_u32_e32 v1, s33
	s_sub_i32 s0, 0, s33
	v_rcp_iflag_f32_e32 v1, v1
	v_mul_f32_e32 v1, 0x4f7ffffe, v1
	v_cvt_u32_f32_e32 v1, v1
	v_mul_lo_u32 v2, s0, v1
	v_mul_hi_u32 v2, v1, v2
	v_add_u32_e32 v1, v1, v2
	v_mul_hi_u32 v1, v0, v1
	v_mul_lo_u32 v2, v1, s33
	v_sub_u32_e32 v2, v0, v2
	v_add_u32_e32 v3, 1, v1
	v_subrev_u32_e32 v4, s33, v2
	v_cmp_le_u32_e32 vcc, s33, v2
	v_cndmask_b32_e32 v2, v2, v4, vcc
	v_cndmask_b32_e32 v1, v1, v3, vcc
	v_add_u32_e32 v3, 1, v1
	v_cmp_le_u32_e32 vcc, s33, v2
	v_cndmask_b32_e32 v2, v1, v3, vcc
	v_mov_b32_e32 v3, 0
.LBB12_4:
	s_sub_u32 s0, 0, s10
	s_subb_u32 s1, 0, s11
	s_sub_u32 s4, 0, s2
	s_subb_u32 s5, 0, s3
	s_waitcnt lgkmcnt(0)
	s_add_i32 s8, s8, s21
	s_add_i32 s7, s7, s20
	s_mul_i32 s8, s8, s22
	s_add_i32 s7, s7, s8
	s_mul_i32 s8, s7, s19
	s_mul_hi_u32 s19, s7, s18
	s_add_i32 s8, s19, s8
	s_mul_i32 s20, s7, s18
	v_mul_lo_u32 v1, v3, s33
	v_mul_lo_u32 v6, v2, s25
	v_mad_u64_u32 v[4:5], s[18:19], v2, s33, 0
	v_add3_u32 v1, v5, v6, v1
	v_sub_co_u32_e32 v0, vcc, v0, v4
	v_subb_co_u32_e32 v1, vcc, 0, v1, vcc
	v_mov_b32_e32 v5, s3
	v_subrev_co_u32_e32 v4, vcc, s2, v0
	v_subb_co_u32_e32 v5, vcc, v1, v5, vcc
	v_ashrrev_i32_e32 v6, 31, v5
	v_xor_b32_e32 v4, v4, v6
	v_xor_b32_e32 v5, v5, v6
	v_sub_co_u32_e32 v4, vcc, v4, v6
	v_subb_co_u32_e32 v5, vcc, v5, v6, vcc
	v_mov_b32_e32 v6, s9
	v_subrev_co_u32_e32 v7, vcc, s6, v0
	v_subb_co_u32_e32 v6, vcc, v1, v6, vcc
	v_add_co_u32_e32 v7, vcc, 1, v7
	v_addc_co_u32_e32 v6, vcc, 0, v6, vcc
	v_ashrrev_i32_e32 v8, 31, v6
	v_xor_b32_e32 v7, v7, v8
	v_xor_b32_e32 v6, v6, v8
	v_sub_co_u32_e32 v9, vcc, v7, v8
	v_subb_co_u32_e32 v8, vcc, v6, v8, vcc
	v_mov_b32_e32 v6, s11
	v_subrev_co_u32_e32 v10, vcc, s10, v2
	v_subb_co_u32_e32 v6, vcc, v3, v6, vcc
	v_ashrrev_i32_e32 v11, 31, v6
	v_cmp_gt_i64_e64 s[18:19], s[4:5], 0
	v_xor_b32_e32 v12, v6, v11
	v_mov_b32_e32 v6, s7
	s_and_b64 s[18:19], s[18:19], exec
	s_mul_i32 s35, s35, s7
	v_mad_u64_u32 v[6:7], s[18:19], s34, v6, v[2:3]
	v_add_u32_e32 v7, s35, v7
	v_mul_lo_u32 v13, v7, s33
	v_mul_lo_u32 v14, v6, s25
	v_mad_u64_u32 v[6:7], s[18:19], v6, s33, 0
	v_add3_u32 v7, v7, v14, v13
	v_lshlrev_b64 v[6:7], 3, v[6:7]
	v_mov_b32_e32 v13, s15
	v_add_co_u32_e32 v14, vcc, s14, v6
	v_addc_co_u32_e32 v13, vcc, v13, v7, vcc
	v_lshlrev_b64 v[6:7], 3, v[0:1]
	v_add_co_u32_e32 v6, vcc, v14, v6
	v_addc_co_u32_e32 v7, vcc, v13, v7, vcc
	global_load_dwordx2 v[6:7], v[6:7], off
	s_cselect_b32 s21, s5, 0
	s_cselect_b32 s22, s4, 0
	v_cmp_gt_i64_e64 s[4:5], s[0:1], 0
	s_and_b64 s[4:5], s[4:5], exec
	s_cselect_b32 s23, s1, 0
	s_cselect_b32 s24, s0, 0
	v_cmp_gt_i64_e64 s[0:1], s[2:3], 0
	s_and_b64 s[0:1], s[0:1], exec
	v_xor_b32_e32 v10, v10, v11
	v_cmp_gt_i64_e64 s[0:1], s[10:11], 0
	v_sub_co_u32_e32 v10, vcc, v10, v11
	s_cselect_b32 s5, s3, 0
	s_cselect_b32 s4, s2, 0
	s_and_b64 s[0:1], s[0:1], exec
	v_subb_co_u32_e32 v11, vcc, v12, v11, vcc
	s_cselect_b32 s1, s11, 0
	s_cselect_b32 s0, s10, 0
	v_mov_b32_e32 v12, s31
	v_subrev_co_u32_e32 v13, vcc, s30, v2
	s_not_b64 s[4:5], s[4:5]
	v_subb_co_u32_e32 v12, vcc, v3, v12, vcc
	s_not_b64 s[0:1], s[0:1]
	v_add_co_u32_e32 v13, vcc, 1, v13
	s_add_u32 s7, s30, s10
	v_addc_co_u32_e32 v12, vcc, 0, v12, vcc
	s_addc_u32 s10, s31, s11
	v_ashrrev_i32_e32 v14, 31, v12
	s_add_u32 s0, s7, s0
	v_xor_b32_e32 v13, v13, v14
	s_addc_u32 s1, s10, s1
	v_xor_b32_e32 v12, v12, v14
	v_sub_co_u32_e32 v13, vcc, v13, v14
	s_add_u32 s0, s0, s24
	v_subb_co_u32_e32 v12, vcc, v12, v14, vcc
	s_addc_u32 s1, s1, s23
	s_add_u32 s0, s0, s20
	v_add_co_u32_e32 v2, vcc, v2, v13
	s_addc_u32 s1, s1, s8
	v_addc_co_u32_e32 v3, vcc, v3, v12, vcc
	v_mov_b32_e32 v12, s1
	v_sub_co_u32_e32 v2, vcc, s0, v2
	v_subb_co_u32_e32 v3, vcc, v12, v3, vcc
	v_add_co_u32_e32 v2, vcc, v2, v10
	v_addc_co_u32_e32 v3, vcc, v3, v11, vcc
	v_mul_lo_u32 v10, v3, s16
	v_mul_lo_u32 v11, v2, s17
	v_mad_u64_u32 v[2:3], s[0:1], v2, s16, 0
	s_add_u32 s0, s6, s2
	s_addc_u32 s1, s9, s3
	s_add_u32 s0, s0, s4
	s_addc_u32 s1, s1, s5
	s_add_u32 s0, s0, s22
	v_add_co_u32_e32 v0, vcc, v0, v9
	s_addc_u32 s1, s1, s21
	v_addc_co_u32_e32 v1, vcc, v1, v8, vcc
	v_mov_b32_e32 v8, s1
	v_sub_co_u32_e32 v0, vcc, s0, v0
	v_subb_co_u32_e32 v1, vcc, v8, v1, vcc
	v_lshlrev_b64 v[0:1], 3, v[0:1]
	v_mov_b32_e32 v8, s13
	v_add_co_u32_e32 v9, vcc, s12, v0
	v_addc_co_u32_e32 v8, vcc, v8, v1, vcc
	v_lshlrev_b64 v[0:1], 3, v[4:5]
	v_add3_u32 v3, v3, v11, v10
	v_add_co_u32_e32 v4, vcc, v9, v0
	v_addc_co_u32_e32 v5, vcc, v8, v1, vcc
	v_lshlrev_b64 v[0:1], 3, v[2:3]
	v_add_co_u32_e32 v0, vcc, v4, v0
	v_addc_co_u32_e32 v1, vcc, v5, v1, vcc
	s_waitcnt vmcnt(0)
	global_atomic_add_f64 v[0:1], v[6:7], off
.LBB12_5:
	s_endpgm
.LBB12_6:
                                        ; implicit-def: $vgpr2_vgpr3
	s_branch .LBB12_3
	.section	.rodata,"a",@progbits
	.p2align	6, 0x0
	.amdhsa_kernel _ZN2at6native12_GLOBAL__N_136reflection_pad2d_backward_out_kernelIdEEvPT_PKS3_lliiiiiii
		.amdhsa_group_segment_fixed_size 0
		.amdhsa_private_segment_fixed_size 0
		.amdhsa_kernarg_size 320
		.amdhsa_user_sgpr_count 6
		.amdhsa_user_sgpr_private_segment_buffer 1
		.amdhsa_user_sgpr_dispatch_ptr 0
		.amdhsa_user_sgpr_queue_ptr 0
		.amdhsa_user_sgpr_kernarg_segment_ptr 1
		.amdhsa_user_sgpr_dispatch_id 0
		.amdhsa_user_sgpr_flat_scratch_init 0
		.amdhsa_user_sgpr_kernarg_preload_length 0
		.amdhsa_user_sgpr_kernarg_preload_offset 0
		.amdhsa_user_sgpr_private_segment_size 0
		.amdhsa_uses_dynamic_stack 0
		.amdhsa_system_sgpr_private_segment_wavefront_offset 0
		.amdhsa_system_sgpr_workgroup_id_x 1
		.amdhsa_system_sgpr_workgroup_id_y 1
		.amdhsa_system_sgpr_workgroup_id_z 1
		.amdhsa_system_sgpr_workgroup_info 0
		.amdhsa_system_vgpr_workitem_id 0
		.amdhsa_next_free_vgpr 15
		.amdhsa_next_free_sgpr 36
		.amdhsa_accum_offset 16
		.amdhsa_reserve_vcc 1
		.amdhsa_reserve_flat_scratch 0
		.amdhsa_float_round_mode_32 0
		.amdhsa_float_round_mode_16_64 0
		.amdhsa_float_denorm_mode_32 3
		.amdhsa_float_denorm_mode_16_64 3
		.amdhsa_dx10_clamp 1
		.amdhsa_ieee_mode 1
		.amdhsa_fp16_overflow 0
		.amdhsa_tg_split 0
		.amdhsa_exception_fp_ieee_invalid_op 0
		.amdhsa_exception_fp_denorm_src 0
		.amdhsa_exception_fp_ieee_div_zero 0
		.amdhsa_exception_fp_ieee_overflow 0
		.amdhsa_exception_fp_ieee_underflow 0
		.amdhsa_exception_fp_ieee_inexact 0
		.amdhsa_exception_int_div_zero 0
	.end_amdhsa_kernel
	.section	.text._ZN2at6native12_GLOBAL__N_136reflection_pad2d_backward_out_kernelIdEEvPT_PKS3_lliiiiiii,"axG",@progbits,_ZN2at6native12_GLOBAL__N_136reflection_pad2d_backward_out_kernelIdEEvPT_PKS3_lliiiiiii,comdat
.Lfunc_end12:
	.size	_ZN2at6native12_GLOBAL__N_136reflection_pad2d_backward_out_kernelIdEEvPT_PKS3_lliiiiiii, .Lfunc_end12-_ZN2at6native12_GLOBAL__N_136reflection_pad2d_backward_out_kernelIdEEvPT_PKS3_lliiiiiii
                                        ; -- End function
	.section	.AMDGPU.csdata,"",@progbits
; Kernel info:
; codeLenInByte = 1572
; NumSgprs: 40
; NumVgprs: 15
; NumAgprs: 0
; TotalNumVgprs: 15
; ScratchSize: 0
; MemoryBound: 0
; FloatMode: 240
; IeeeMode: 1
; LDSByteSize: 0 bytes/workgroup (compile time only)
; SGPRBlocks: 4
; VGPRBlocks: 1
; NumSGPRsForWavesPerEU: 40
; NumVGPRsForWavesPerEU: 15
; AccumOffset: 16
; Occupancy: 8
; WaveLimiterHint : 0
; COMPUTE_PGM_RSRC2:SCRATCH_EN: 0
; COMPUTE_PGM_RSRC2:USER_SGPR: 6
; COMPUTE_PGM_RSRC2:TRAP_HANDLER: 0
; COMPUTE_PGM_RSRC2:TGID_X_EN: 1
; COMPUTE_PGM_RSRC2:TGID_Y_EN: 1
; COMPUTE_PGM_RSRC2:TGID_Z_EN: 1
; COMPUTE_PGM_RSRC2:TIDIG_COMP_CNT: 0
; COMPUTE_PGM_RSRC3_GFX90A:ACCUM_OFFSET: 3
; COMPUTE_PGM_RSRC3_GFX90A:TG_SPLIT: 0
	.section	.text._ZN2at6native12_GLOBAL__N_140reflection_pad2d_backward_det_out_kernelIfEEvPT_PKS3_lliiiiiii,"axG",@progbits,_ZN2at6native12_GLOBAL__N_140reflection_pad2d_backward_det_out_kernelIfEEvPT_PKS3_lliiiiiii,comdat
	.globl	_ZN2at6native12_GLOBAL__N_140reflection_pad2d_backward_det_out_kernelIfEEvPT_PKS3_lliiiiiii ; -- Begin function _ZN2at6native12_GLOBAL__N_140reflection_pad2d_backward_det_out_kernelIfEEvPT_PKS3_lliiiiiii
	.p2align	8
	.type	_ZN2at6native12_GLOBAL__N_140reflection_pad2d_backward_det_out_kernelIfEEvPT_PKS3_lliiiiiii,@function
_ZN2at6native12_GLOBAL__N_140reflection_pad2d_backward_det_out_kernelIfEEvPT_PKS3_lliiiiiii: ; @_ZN2at6native12_GLOBAL__N_140reflection_pad2d_backward_det_out_kernelIfEEvPT_PKS3_lliiiiiii
; %bb.0:
	s_load_dword s2, s[4:5], 0x4c
	s_load_dwordx2 s[0:1], s[4:5], 0x30
	s_load_dwordx8 s[8:15], s[4:5], 0x0
	s_add_u32 s18, s4, 64
	s_addc_u32 s19, s5, 0
	s_waitcnt lgkmcnt(0)
	s_and_b32 s22, s2, 0xffff
	s_ashr_i32 s2, s0, 31
	s_mul_i32 s3, s14, s13
	s_mul_hi_u32 s16, s14, s12
	s_add_i32 s33, s16, s3
	s_mul_i32 s3, s15, s12
	s_mul_i32 s50, s14, s12
	s_add_i32 s33, s33, s3
	s_mul_i32 s2, s50, s2
	s_mul_hi_u32 s16, s50, s0
	s_ashr_i32 s7, s1, 31
	s_mul_i32 s3, s33, s0
	s_add_i32 s2, s16, s2
	s_mul_i32 s0, s50, s0
	s_add_i32 s2, s2, s3
	s_mul_i32 s3, s0, s7
	s_mul_hi_u32 s16, s0, s1
	s_mul_i32 s6, s6, s22
	v_mov_b32_e32 v2, 0
	s_mul_i32 s2, s2, s1
	s_add_i32 s3, s16, s3
	v_add_u32_e32 v0, s6, v0
	v_mov_b32_e32 v1, v2
	s_add_i32 s17, s3, s2
	s_mul_i32 s16, s0, s1
	s_mov_b32 s6, s1
	v_cmp_gt_i64_e32 vcc, s[16:17], v[0:1]
	s_and_saveexec_b64 s[0:1], vcc
	s_cbranch_execz .LBB13_53
; %bb.1:
	s_load_dwordx4 s[0:3], s[4:5], 0x20
	s_load_dword s24, s[18:19], 0x0
	v_sub_co_u32_e32 v4, vcc, 0, v0
	s_mul_i32 s54, s50, s6
	s_waitcnt lgkmcnt(0)
	s_ashr_i32 s5, s2, 31
	s_add_u32 s34, s2, s12
	s_addc_u32 s35, s5, s13
	s_ashr_i32 s31, s3, 31
	s_add_u32 s51, s34, s3
	s_addc_u32 s52, s35, s31
	s_ashr_i32 s19, s0, 31
	s_mov_b32 s30, s3
	s_add_u32 s3, s0, s14
	s_addc_u32 s20, s19, s15
	s_ashr_i32 s27, s1, 31
	s_mov_b32 s26, s1
	s_add_u32 s1, s3, s1
	s_addc_u32 s3, s20, s27
	s_mul_i32 s3, s51, s3
	s_mul_hi_u32 s20, s51, s1
	s_add_i32 s3, s20, s3
	s_mul_i32 s20, s52, s1
	s_add_i32 s21, s3, s20
	s_mul_i32 s20, s51, s1
	s_mul_i32 s1, s50, s7
	s_mul_hi_u32 s3, s50, s6
	s_add_i32 s1, s3, s1
	s_mul_i32 s3, s33, s6
	s_add_i32 s53, s1, s3
	s_mul_hi_u32 s23, s22, s24
	s_mul_i32 s22, s22, s24
	s_add_u32 s24, s14, -1
	s_addc_u32 s25, s15, -1
	s_not_b64 s[26:27], s[26:27]
	s_add_u32 s26, s26, s14
	s_addc_u32 s27, s27, s15
	s_add_u32 s28, s12, -1
	s_addc_u32 s29, s13, -1
	s_not_b64 s[30:31], s[30:31]
	s_add_u32 s30, s30, s12
	s_mul_i32 s1, s20, s7
	s_mul_hi_u32 s3, s20, s6
	s_addc_u32 s31, s31, s13
	s_add_i32 s1, s3, s1
	s_mul_i32 s3, s21, s6
	s_add_i32 s55, s1, s3
	s_add_u32 s1, s12, s34
	s_addc_u32 s3, s13, s35
	s_add_u32 s57, s1, -2
	s_addc_u32 s58, s3, -1
	s_lshl_b64 s[34:35], s[24:25], 1
	s_add_u32 s59, s34, s0
	s_mov_b32 s18, s0
	s_addc_u32 s60, s35, s19
	s_lshl_b64 s[0:1], s[28:29], 1
	s_add_u32 s61, s0, s2
	s_addc_u32 s62, s1, s5
	s_mov_b32 s4, s2
	s_sub_u32 s63, 0, s14
	v_subb_co_u32_e64 v5, s[0:1], 0, 0, vcc
	s_subb_u32 s64, 0, s15
	s_lshl_b64 s[36:37], s[6:7], 2
	s_lshl_b64 s[38:39], s[12:13], 2
	;; [unrolled: 1-line block ×3, first 2 shown]
	s_add_u32 s65, s10, s0
	s_addc_u32 s66, s11, s1
	s_lshl_b64 s[40:41], s[22:23], 2
	s_sub_u32 s67, 0, s50
	s_mul_i32 s56, s20, s6
	s_mov_b64 s[34:35], 0
	v_lshlrev_b64 v[6:7], 2, v[0:1]
	s_subb_u32 s68, 0, s33
	s_branch .LBB13_4
.LBB13_2:                               ;   in Loop: Header=BB13_4 Depth=1
	s_or_b64 exec, exec, s[0:1]
.LBB13_3:                               ;   in Loop: Header=BB13_4 Depth=1
	s_or_b64 exec, exec, s[42:43]
	v_lshlrev_b64 v[10:11], 2, v[12:13]
	v_mul_lo_u32 v12, s36, v9
	v_mul_lo_u32 v13, s37, v8
	v_mad_u64_u32 v[8:9], s[0:1], s36, v8, v[10:11]
	v_add3_u32 v9, v13, v9, v12
	v_mul_lo_u32 v12, s39, v3
	v_mul_lo_u32 v13, s38, v22
	v_mad_u64_u32 v[10:11], s[0:1], s38, v3, 0
	v_add3_u32 v11, v11, v13, v12
	v_mul_lo_u32 v3, s20, v9
	v_mad_u64_u32 v[10:11], s[0:1], s20, v8, v[10:11]
	v_mul_lo_u32 v8, s21, v8
	v_add3_u32 v3, v8, v11, v3
	v_lshlrev_b64 v[8:9], 2, v[18:19]
	v_add_co_u32_e32 v8, vcc, v10, v8
	v_addc_co_u32_e32 v3, vcc, v3, v9, vcc
	v_add_co_u32_e32 v8, vcc, v6, v8
	v_addc_co_u32_e32 v3, vcc, v7, v3, vcc
	v_mov_b32_e32 v9, s66
	v_add_co_u32_e32 v8, vcc, s65, v8
	v_addc_co_u32_e32 v9, vcc, v9, v3, vcc
	global_load_dword v3, v[8:9], off
	v_mov_b32_e32 v9, s9
	v_add_co_u32_e32 v8, vcc, s8, v6
	v_addc_co_u32_e32 v9, vcc, v9, v7, vcc
	global_load_dword v10, v[8:9], off
	v_mov_b32_e32 v11, s23
	v_add_co_u32_e32 v0, vcc, s22, v0
	v_addc_co_u32_e32 v1, vcc, v1, v11, vcc
	v_subrev_co_u32_e32 v4, vcc, s22, v4
	v_subb_co_u32_e32 v5, vcc, v5, v11, vcc
	v_cmp_le_i64_e32 vcc, s[16:17], v[0:1]
	v_mov_b32_e32 v12, s41
	s_or_b64 s[34:35], vcc, s[34:35]
	v_add_co_u32_e32 v6, vcc, s40, v6
	v_addc_co_u32_e32 v7, vcc, v7, v12, vcc
	s_waitcnt vmcnt(1)
	v_add_f32_e32 v3, v23, v3
	s_waitcnt vmcnt(0)
	v_add_f32_e32 v3, v10, v3
	global_store_dword v[8:9], v3, off
	s_andn2_b64 exec, exec, s[34:35]
	s_cbranch_execz .LBB13_53
.LBB13_4:                               ; =>This Inner Loop Header: Depth=1
	v_or_b32_e32 v3, s53, v1
	v_cmp_ne_u64_e32 vcc, 0, v[2:3]
	v_ashrrev_i32_e32 v12, 31, v1
                                        ; implicit-def: $vgpr8_vgpr9
	s_and_saveexec_b64 s[0:1], vcc
	s_xor_b64 s[2:3], exec, s[0:1]
	s_cbranch_execz .LBB13_6
; %bb.5:                                ;   in Loop: Header=BB13_4 Depth=1
	s_ashr_i32 s42, s53, 31
	s_add_u32 s0, s54, s42
	s_mov_b32 s43, s42
	s_addc_u32 s1, s53, s42
	s_xor_b64 s[44:45], s[0:1], s[42:43]
	v_cvt_f32_u32_e32 v3, s44
	v_cvt_f32_u32_e32 v8, s45
	s_sub_u32 s0, 0, s44
	s_subb_u32 s1, 0, s45
	v_mac_f32_e32 v3, 0x4f800000, v8
	v_rcp_f32_e32 v3, v3
	v_mul_f32_e32 v3, 0x5f7ffffc, v3
	v_mul_f32_e32 v8, 0x2f800000, v3
	v_trunc_f32_e32 v8, v8
	v_mac_f32_e32 v3, 0xcf800000, v8
	v_cvt_u32_f32_e32 v8, v8
	v_cvt_u32_f32_e32 v3, v3
	v_mul_lo_u32 v9, s0, v8
	v_mul_hi_u32 v11, s0, v3
	v_mul_lo_u32 v10, s1, v3
	v_add_u32_e32 v9, v11, v9
	v_mul_lo_u32 v13, s0, v3
	v_add_u32_e32 v9, v9, v10
	v_mul_lo_u32 v11, v3, v9
	v_mul_hi_u32 v14, v3, v13
	v_mul_hi_u32 v10, v3, v9
	v_add_co_u32_e32 v11, vcc, v14, v11
	v_addc_co_u32_e32 v10, vcc, 0, v10, vcc
	v_mul_hi_u32 v15, v8, v13
	v_mul_lo_u32 v13, v8, v13
	v_add_co_u32_e32 v11, vcc, v11, v13
	v_mul_hi_u32 v14, v8, v9
	v_addc_co_u32_e32 v10, vcc, v10, v15, vcc
	v_addc_co_u32_e32 v11, vcc, 0, v14, vcc
	v_mul_lo_u32 v9, v8, v9
	v_add_co_u32_e32 v9, vcc, v10, v9
	v_addc_co_u32_e32 v10, vcc, 0, v11, vcc
	v_add_co_u32_e32 v3, vcc, v3, v9
	v_addc_co_u32_e32 v8, vcc, v8, v10, vcc
	v_mul_lo_u32 v9, s0, v8
	v_mul_hi_u32 v10, s0, v3
	v_add_u32_e32 v9, v10, v9
	v_mul_lo_u32 v10, s1, v3
	v_add_u32_e32 v9, v9, v10
	v_mul_lo_u32 v11, s0, v3
	v_mul_hi_u32 v13, v8, v11
	v_mul_lo_u32 v14, v8, v11
	v_mul_lo_u32 v16, v3, v9
	v_mul_hi_u32 v11, v3, v11
	v_mul_hi_u32 v15, v3, v9
	v_add_co_u32_e32 v11, vcc, v11, v16
	v_addc_co_u32_e32 v15, vcc, 0, v15, vcc
	v_add_co_u32_e32 v11, vcc, v11, v14
	v_mul_hi_u32 v10, v8, v9
	v_addc_co_u32_e32 v11, vcc, v15, v13, vcc
	v_addc_co_u32_e32 v10, vcc, 0, v10, vcc
	v_mul_lo_u32 v9, v8, v9
	v_add_co_u32_e32 v9, vcc, v11, v9
	v_addc_co_u32_e32 v10, vcc, 0, v10, vcc
	v_add_co_u32_e32 v3, vcc, v3, v9
	v_addc_co_u32_e32 v10, vcc, v8, v10, vcc
	;; [unrolled: 2-line block ×3, first 2 shown]
	v_xor_b32_e32 v14, v8, v12
	v_xor_b32_e32 v13, v9, v12
	v_mad_u64_u32 v[8:9], s[0:1], v14, v10, 0
	v_mul_hi_u32 v11, v14, v3
	v_add_co_u32_e32 v15, vcc, v11, v8
	v_addc_co_u32_e32 v16, vcc, 0, v9, vcc
	v_mad_u64_u32 v[8:9], s[0:1], v13, v10, 0
	v_mad_u64_u32 v[10:11], s[0:1], v13, v3, 0
	v_add_co_u32_e32 v3, vcc, v15, v10
	v_addc_co_u32_e32 v3, vcc, v16, v11, vcc
	v_addc_co_u32_e32 v9, vcc, 0, v9, vcc
	v_add_co_u32_e32 v3, vcc, v3, v8
	v_addc_co_u32_e32 v10, vcc, 0, v9, vcc
	v_mul_lo_u32 v11, s45, v3
	v_mul_lo_u32 v15, s44, v10
	v_mad_u64_u32 v[8:9], s[0:1], s44, v3, 0
	v_add3_u32 v9, v9, v15, v11
	v_sub_u32_e32 v11, v13, v9
	v_mov_b32_e32 v15, s45
	v_sub_co_u32_e32 v8, vcc, v14, v8
	v_subb_co_u32_e64 v11, s[0:1], v11, v15, vcc
	v_subrev_co_u32_e64 v14, s[0:1], s44, v8
	v_subbrev_co_u32_e64 v11, s[0:1], 0, v11, s[0:1]
	v_cmp_le_u32_e64 s[0:1], s45, v11
	v_cndmask_b32_e64 v15, 0, -1, s[0:1]
	v_cmp_le_u32_e64 s[0:1], s44, v14
	v_cndmask_b32_e64 v14, 0, -1, s[0:1]
	v_cmp_eq_u32_e64 s[0:1], s45, v11
	v_cndmask_b32_e64 v11, v15, v14, s[0:1]
	v_add_co_u32_e64 v14, s[0:1], 2, v3
	v_subb_co_u32_e32 v9, vcc, v13, v9, vcc
	v_addc_co_u32_e64 v15, s[0:1], 0, v10, s[0:1]
	v_cmp_le_u32_e32 vcc, s45, v9
	v_add_co_u32_e64 v16, s[0:1], 1, v3
	v_cndmask_b32_e64 v13, 0, -1, vcc
	v_cmp_le_u32_e32 vcc, s44, v8
	v_addc_co_u32_e64 v17, s[0:1], 0, v10, s[0:1]
	v_cndmask_b32_e64 v8, 0, -1, vcc
	v_cmp_eq_u32_e32 vcc, s45, v9
	v_cmp_ne_u32_e64 s[0:1], 0, v11
	v_cndmask_b32_e32 v8, v13, v8, vcc
	v_cmp_ne_u32_e32 vcc, 0, v8
	v_cndmask_b32_e64 v9, v16, v14, s[0:1]
	v_cndmask_b32_e64 v11, v17, v15, s[0:1]
	v_cndmask_b32_e32 v3, v3, v9, vcc
	v_xor_b32_e32 v9, s42, v12
	v_cndmask_b32_e32 v8, v10, v11, vcc
	v_xor_b32_e32 v3, v3, v9
	v_xor_b32_e32 v10, v8, v9
	v_sub_co_u32_e32 v8, vcc, v3, v9
	v_subb_co_u32_e32 v9, vcc, v10, v9, vcc
.LBB13_6:                               ;   in Loop: Header=BB13_4 Depth=1
	s_andn2_saveexec_b64 s[0:1], s[2:3]
	s_cbranch_execz .LBB13_8
; %bb.7:                                ;   in Loop: Header=BB13_4 Depth=1
	v_cvt_f32_u32_e32 v3, s54
	s_sub_i32 s2, 0, s54
	v_rcp_iflag_f32_e32 v3, v3
	v_mul_f32_e32 v3, 0x4f7ffffe, v3
	v_cvt_u32_f32_e32 v3, v3
	v_mul_lo_u32 v8, s2, v3
	v_mul_hi_u32 v8, v3, v8
	v_add_u32_e32 v3, v3, v8
	v_mul_hi_u32 v3, v0, v3
	v_mul_lo_u32 v8, v3, s54
	v_sub_u32_e32 v8, v0, v8
	v_add_u32_e32 v9, 1, v3
	v_subrev_u32_e32 v10, s54, v8
	v_cmp_le_u32_e32 vcc, s54, v8
	v_cndmask_b32_e32 v8, v8, v10, vcc
	v_cndmask_b32_e32 v3, v3, v9, vcc
	v_add_u32_e32 v9, 1, v3
	v_cmp_le_u32_e32 vcc, s54, v8
	v_cndmask_b32_e32 v8, v3, v9, vcc
	v_mov_b32_e32 v9, v2
.LBB13_8:                               ;   in Loop: Header=BB13_4 Depth=1
	s_or_b64 exec, exec, s[0:1]
	v_or_b32_e32 v3, s33, v1
	v_cmp_ne_u64_e32 vcc, 0, v[2:3]
                                        ; implicit-def: $vgpr10_vgpr11
	s_and_saveexec_b64 s[0:1], vcc
	s_xor_b64 s[2:3], exec, s[0:1]
	s_cbranch_execz .LBB13_10
; %bb.9:                                ;   in Loop: Header=BB13_4 Depth=1
	s_ashr_i32 s42, s33, 31
	s_add_u32 s0, s50, s42
	s_mov_b32 s43, s42
	s_addc_u32 s1, s33, s42
	s_xor_b64 s[44:45], s[0:1], s[42:43]
	v_cvt_f32_u32_e32 v3, s44
	v_cvt_f32_u32_e32 v10, s45
	s_sub_u32 s0, 0, s44
	s_subb_u32 s1, 0, s45
	v_mac_f32_e32 v3, 0x4f800000, v10
	v_rcp_f32_e32 v3, v3
	v_mul_f32_e32 v3, 0x5f7ffffc, v3
	v_mul_f32_e32 v10, 0x2f800000, v3
	v_trunc_f32_e32 v10, v10
	v_mac_f32_e32 v3, 0xcf800000, v10
	v_cvt_u32_f32_e32 v10, v10
	v_cvt_u32_f32_e32 v3, v3
	v_mul_lo_u32 v11, s0, v10
	v_mul_hi_u32 v14, s0, v3
	v_mul_lo_u32 v13, s1, v3
	v_add_u32_e32 v11, v14, v11
	v_mul_lo_u32 v15, s0, v3
	v_add_u32_e32 v11, v11, v13
	v_mul_lo_u32 v14, v3, v11
	v_mul_hi_u32 v16, v3, v15
	v_mul_hi_u32 v13, v3, v11
	v_add_co_u32_e32 v14, vcc, v16, v14
	v_addc_co_u32_e32 v13, vcc, 0, v13, vcc
	v_mul_hi_u32 v17, v10, v15
	v_mul_lo_u32 v15, v10, v15
	v_add_co_u32_e32 v14, vcc, v14, v15
	v_mul_hi_u32 v16, v10, v11
	v_addc_co_u32_e32 v13, vcc, v13, v17, vcc
	v_addc_co_u32_e32 v14, vcc, 0, v16, vcc
	v_mul_lo_u32 v11, v10, v11
	v_add_co_u32_e32 v11, vcc, v13, v11
	v_addc_co_u32_e32 v13, vcc, 0, v14, vcc
	v_add_co_u32_e32 v3, vcc, v3, v11
	v_addc_co_u32_e32 v10, vcc, v10, v13, vcc
	v_mul_lo_u32 v11, s0, v10
	v_mul_hi_u32 v13, s0, v3
	v_add_u32_e32 v11, v13, v11
	v_mul_lo_u32 v13, s1, v3
	v_add_u32_e32 v11, v11, v13
	v_mul_lo_u32 v14, s0, v3
	v_mul_hi_u32 v15, v10, v14
	v_mul_lo_u32 v16, v10, v14
	v_mul_lo_u32 v18, v3, v11
	v_mul_hi_u32 v14, v3, v14
	v_mul_hi_u32 v17, v3, v11
	v_add_co_u32_e32 v14, vcc, v14, v18
	v_addc_co_u32_e32 v17, vcc, 0, v17, vcc
	v_add_co_u32_e32 v14, vcc, v14, v16
	v_mul_hi_u32 v13, v10, v11
	v_addc_co_u32_e32 v14, vcc, v17, v15, vcc
	v_addc_co_u32_e32 v13, vcc, 0, v13, vcc
	v_mul_lo_u32 v11, v10, v11
	v_add_co_u32_e32 v11, vcc, v14, v11
	v_addc_co_u32_e32 v13, vcc, 0, v13, vcc
	v_add_co_u32_e32 v3, vcc, v3, v11
	v_addc_co_u32_e32 v13, vcc, v10, v13, vcc
	;; [unrolled: 2-line block ×3, first 2 shown]
	v_xor_b32_e32 v17, v10, v12
	v_xor_b32_e32 v16, v11, v12
	v_mad_u64_u32 v[10:11], s[0:1], v17, v13, 0
	v_mul_hi_u32 v14, v17, v3
	v_add_co_u32_e32 v18, vcc, v14, v10
	v_addc_co_u32_e32 v19, vcc, 0, v11, vcc
	v_mad_u64_u32 v[14:15], s[0:1], v16, v3, 0
	v_add_co_u32_e32 v3, vcc, v18, v14
	v_mad_u64_u32 v[10:11], s[0:1], v16, v13, 0
	v_addc_co_u32_e32 v3, vcc, v19, v15, vcc
	v_addc_co_u32_e32 v11, vcc, 0, v11, vcc
	v_add_co_u32_e32 v3, vcc, v3, v10
	v_addc_co_u32_e32 v13, vcc, 0, v11, vcc
	v_mul_lo_u32 v14, s45, v3
	v_mul_lo_u32 v15, s44, v13
	v_mad_u64_u32 v[10:11], s[0:1], s44, v3, 0
	v_add3_u32 v11, v11, v15, v14
	v_sub_u32_e32 v14, v16, v11
	v_mov_b32_e32 v15, s45
	v_sub_co_u32_e32 v10, vcc, v17, v10
	v_subb_co_u32_e64 v14, s[0:1], v14, v15, vcc
	v_subrev_co_u32_e64 v15, s[0:1], s44, v10
	v_subbrev_co_u32_e64 v14, s[0:1], 0, v14, s[0:1]
	v_cmp_le_u32_e64 s[0:1], s45, v14
	v_cndmask_b32_e64 v17, 0, -1, s[0:1]
	v_cmp_le_u32_e64 s[0:1], s44, v15
	v_cndmask_b32_e64 v15, 0, -1, s[0:1]
	v_cmp_eq_u32_e64 s[0:1], s45, v14
	v_cndmask_b32_e64 v14, v17, v15, s[0:1]
	v_add_co_u32_e64 v15, s[0:1], 2, v3
	v_subb_co_u32_e32 v11, vcc, v16, v11, vcc
	v_addc_co_u32_e64 v17, s[0:1], 0, v13, s[0:1]
	v_cmp_le_u32_e32 vcc, s45, v11
	v_add_co_u32_e64 v18, s[0:1], 1, v3
	v_cndmask_b32_e64 v16, 0, -1, vcc
	v_cmp_le_u32_e32 vcc, s44, v10
	v_addc_co_u32_e64 v19, s[0:1], 0, v13, s[0:1]
	v_cndmask_b32_e64 v10, 0, -1, vcc
	v_cmp_eq_u32_e32 vcc, s45, v11
	v_cmp_ne_u32_e64 s[0:1], 0, v14
	v_cndmask_b32_e32 v10, v16, v10, vcc
	v_cmp_ne_u32_e32 vcc, 0, v10
	v_cndmask_b32_e64 v11, v18, v15, s[0:1]
	v_cndmask_b32_e64 v14, v19, v17, s[0:1]
	v_cndmask_b32_e32 v3, v3, v11, vcc
	v_xor_b32_e32 v11, s42, v12
	v_cndmask_b32_e32 v10, v13, v14, vcc
	v_xor_b32_e32 v3, v3, v11
	v_xor_b32_e32 v12, v10, v11
	v_sub_co_u32_e32 v10, vcc, v3, v11
	v_subb_co_u32_e32 v11, vcc, v12, v11, vcc
.LBB13_10:                              ;   in Loop: Header=BB13_4 Depth=1
	s_andn2_saveexec_b64 s[0:1], s[2:3]
	s_cbranch_execz .LBB13_12
; %bb.11:                               ;   in Loop: Header=BB13_4 Depth=1
	v_cvt_f32_u32_e32 v3, s50
	s_sub_i32 s2, 0, s50
	v_rcp_iflag_f32_e32 v3, v3
	v_mul_f32_e32 v3, 0x4f7ffffe, v3
	v_cvt_u32_f32_e32 v3, v3
	v_mul_lo_u32 v10, s2, v3
	v_mul_hi_u32 v10, v3, v10
	v_add_u32_e32 v3, v3, v10
	v_mul_hi_u32 v3, v0, v3
	v_mul_lo_u32 v10, v3, s50
	v_sub_u32_e32 v10, v0, v10
	v_add_u32_e32 v11, 1, v3
	v_subrev_u32_e32 v12, s50, v10
	v_cmp_le_u32_e32 vcc, s50, v10
	v_cndmask_b32_e32 v10, v10, v12, vcc
	v_cndmask_b32_e32 v3, v3, v11, vcc
	v_add_u32_e32 v11, 1, v3
	v_cmp_le_u32_e32 vcc, s50, v10
	v_cndmask_b32_e32 v10, v3, v11, vcc
	v_mov_b32_e32 v11, v2
.LBB13_12:                              ;   in Loop: Header=BB13_4 Depth=1
	s_or_b64 exec, exec, s[0:1]
	v_or_b32_e32 v3, s7, v11
	v_cmp_ne_u64_e32 vcc, 0, v[2:3]
                                        ; implicit-def: $vgpr12_vgpr13
	s_and_saveexec_b64 s[0:1], vcc
	s_xor_b64 s[42:43], exec, s[0:1]
	s_cbranch_execz .LBB13_14
; %bb.13:                               ;   in Loop: Header=BB13_4 Depth=1
	s_add_u32 s2, s6, s7
	s_mov_b32 s0, s7
	s_mov_b32 s1, s7
	s_addc_u32 s3, s7, s7
	s_xor_b64 s[44:45], s[2:3], s[0:1]
	v_cvt_f32_u32_e32 v3, s44
	v_cvt_f32_u32_e32 v12, s45
	s_sub_u32 s0, 0, s44
	s_subb_u32 s1, 0, s45
	v_mac_f32_e32 v3, 0x4f800000, v12
	v_rcp_f32_e32 v3, v3
	v_mul_f32_e32 v3, 0x5f7ffffc, v3
	v_mul_f32_e32 v12, 0x2f800000, v3
	v_trunc_f32_e32 v12, v12
	v_mac_f32_e32 v3, 0xcf800000, v12
	v_cvt_u32_f32_e32 v12, v12
	v_cvt_u32_f32_e32 v3, v3
	v_mul_lo_u32 v13, s0, v12
	v_mul_hi_u32 v15, s0, v3
	v_mul_lo_u32 v14, s1, v3
	v_add_u32_e32 v13, v15, v13
	v_mul_lo_u32 v16, s0, v3
	v_add_u32_e32 v13, v13, v14
	v_mul_lo_u32 v15, v3, v13
	v_mul_hi_u32 v17, v3, v16
	v_mul_hi_u32 v14, v3, v13
	v_add_co_u32_e32 v15, vcc, v17, v15
	v_addc_co_u32_e32 v14, vcc, 0, v14, vcc
	v_mul_hi_u32 v18, v12, v16
	v_mul_lo_u32 v16, v12, v16
	v_add_co_u32_e32 v15, vcc, v15, v16
	v_mul_hi_u32 v17, v12, v13
	v_addc_co_u32_e32 v14, vcc, v14, v18, vcc
	v_addc_co_u32_e32 v15, vcc, 0, v17, vcc
	v_mul_lo_u32 v13, v12, v13
	v_add_co_u32_e32 v13, vcc, v14, v13
	v_addc_co_u32_e32 v14, vcc, 0, v15, vcc
	v_add_co_u32_e32 v3, vcc, v3, v13
	v_addc_co_u32_e32 v12, vcc, v12, v14, vcc
	v_mul_lo_u32 v13, s0, v12
	v_mul_hi_u32 v14, s0, v3
	v_add_u32_e32 v13, v14, v13
	v_mul_lo_u32 v14, s1, v3
	v_add_u32_e32 v13, v13, v14
	v_mul_lo_u32 v15, s0, v3
	v_mul_hi_u32 v16, v12, v15
	v_mul_lo_u32 v17, v12, v15
	v_mul_lo_u32 v19, v3, v13
	v_mul_hi_u32 v15, v3, v15
	v_mul_hi_u32 v18, v3, v13
	v_add_co_u32_e32 v15, vcc, v15, v19
	v_addc_co_u32_e32 v18, vcc, 0, v18, vcc
	v_add_co_u32_e32 v15, vcc, v15, v17
	v_mul_hi_u32 v14, v12, v13
	v_addc_co_u32_e32 v15, vcc, v18, v16, vcc
	v_addc_co_u32_e32 v14, vcc, 0, v14, vcc
	v_mul_lo_u32 v13, v12, v13
	v_add_co_u32_e32 v13, vcc, v15, v13
	v_addc_co_u32_e32 v14, vcc, 0, v14, vcc
	v_add_co_u32_e32 v3, vcc, v3, v13
	v_addc_co_u32_e32 v14, vcc, v12, v14, vcc
	v_ashrrev_i32_e32 v16, 31, v11
	v_add_co_u32_e32 v12, vcc, v10, v16
	v_addc_co_u32_e32 v13, vcc, v11, v16, vcc
	v_xor_b32_e32 v18, v12, v16
	v_xor_b32_e32 v17, v13, v16
	v_mad_u64_u32 v[12:13], s[0:1], v18, v14, 0
	v_mul_hi_u32 v15, v18, v3
	v_add_co_u32_e32 v19, vcc, v15, v12
	v_addc_co_u32_e32 v20, vcc, 0, v13, vcc
	v_mad_u64_u32 v[12:13], s[0:1], v17, v14, 0
	v_mad_u64_u32 v[14:15], s[0:1], v17, v3, 0
	v_add_co_u32_e32 v3, vcc, v19, v14
	v_addc_co_u32_e32 v3, vcc, v20, v15, vcc
	v_addc_co_u32_e32 v13, vcc, 0, v13, vcc
	v_add_co_u32_e32 v3, vcc, v3, v12
	v_addc_co_u32_e32 v12, vcc, 0, v13, vcc
	v_mul_lo_u32 v14, s45, v3
	v_mul_lo_u32 v15, s44, v12
	v_mad_u64_u32 v[12:13], s[0:1], s44, v3, 0
	v_add3_u32 v3, v13, v15, v14
	v_sub_u32_e32 v13, v17, v3
	v_mov_b32_e32 v14, s45
	v_sub_co_u32_e32 v12, vcc, v18, v12
	v_subb_co_u32_e64 v13, s[0:1], v13, v14, vcc
	v_subrev_co_u32_e64 v15, s[0:1], s44, v12
	v_subbrev_co_u32_e64 v18, s[2:3], 0, v13, s[0:1]
	v_cmp_le_u32_e64 s[2:3], s45, v18
	v_cndmask_b32_e64 v19, 0, -1, s[2:3]
	v_cmp_le_u32_e64 s[2:3], s44, v15
	v_subb_co_u32_e64 v13, s[0:1], v13, v14, s[0:1]
	v_cndmask_b32_e64 v20, 0, -1, s[2:3]
	v_cmp_eq_u32_e64 s[2:3], s45, v18
	v_subrev_co_u32_e64 v14, s[0:1], s44, v15
	v_subb_co_u32_e32 v3, vcc, v17, v3, vcc
	v_cndmask_b32_e64 v19, v19, v20, s[2:3]
	v_subbrev_co_u32_e64 v13, s[0:1], 0, v13, s[0:1]
	v_cmp_le_u32_e32 vcc, s45, v3
	v_cmp_ne_u32_e64 s[0:1], 0, v19
	v_cndmask_b32_e64 v17, 0, -1, vcc
	v_cmp_le_u32_e32 vcc, s44, v12
	v_cndmask_b32_e64 v13, v18, v13, s[0:1]
	v_cndmask_b32_e64 v18, 0, -1, vcc
	v_cmp_eq_u32_e32 vcc, s45, v3
	v_cndmask_b32_e32 v17, v17, v18, vcc
	v_cmp_ne_u32_e32 vcc, 0, v17
	v_cndmask_b32_e32 v3, v3, v13, vcc
	v_cndmask_b32_e64 v13, v15, v14, s[0:1]
	v_cndmask_b32_e32 v12, v12, v13, vcc
	v_xor_b32_e32 v12, v12, v16
	v_xor_b32_e32 v3, v3, v16
	v_sub_co_u32_e32 v12, vcc, v12, v16
	v_subb_co_u32_e32 v13, vcc, v3, v16, vcc
.LBB13_14:                              ;   in Loop: Header=BB13_4 Depth=1
	s_andn2_saveexec_b64 s[0:1], s[42:43]
	s_cbranch_execz .LBB13_16
; %bb.15:                               ;   in Loop: Header=BB13_4 Depth=1
	v_cvt_f32_u32_e32 v3, s6
	s_sub_i32 s2, 0, s6
	v_mov_b32_e32 v13, v2
	v_rcp_iflag_f32_e32 v3, v3
	v_mul_f32_e32 v3, 0x4f7ffffe, v3
	v_cvt_u32_f32_e32 v3, v3
	v_mul_lo_u32 v12, s2, v3
	v_mul_hi_u32 v12, v3, v12
	v_add_u32_e32 v3, v3, v12
	v_mul_hi_u32 v3, v10, v3
	v_mul_lo_u32 v3, v3, s6
	v_sub_u32_e32 v3, v10, v3
	v_subrev_u32_e32 v12, s6, v3
	v_cmp_le_u32_e32 vcc, s6, v3
	v_cndmask_b32_e32 v3, v3, v12, vcc
	v_subrev_u32_e32 v12, s6, v3
	v_cmp_le_u32_e32 vcc, s6, v3
	v_cndmask_b32_e32 v12, v3, v12, vcc
.LBB13_16:                              ;   in Loop: Header=BB13_4 Depth=1
	s_or_b64 exec, exec, s[0:1]
	v_mad_u64_u32 v[16:17], s[0:1], s67, v10, v[0:1]
	v_mul_lo_u32 v3, s67, v11
	v_mul_lo_u32 v14, s68, v10
	v_add3_u32 v17, v14, v17, v3
	v_or_b32_e32 v3, s13, v17
	v_cmp_ne_u64_e32 vcc, 0, v[2:3]
                                        ; implicit-def: $vgpr14_vgpr15
	s_and_saveexec_b64 s[0:1], vcc
	s_xor_b64 s[2:3], exec, s[0:1]
	s_cbranch_execz .LBB13_18
; %bb.17:                               ;   in Loop: Header=BB13_4 Depth=1
	s_ashr_i32 s42, s13, 31
	s_add_u32 s0, s12, s42
	s_mov_b32 s43, s42
	s_addc_u32 s1, s13, s42
	s_xor_b64 s[44:45], s[0:1], s[42:43]
	v_cvt_f32_u32_e32 v3, s44
	v_cvt_f32_u32_e32 v14, s45
	s_sub_u32 s0, 0, s44
	s_subb_u32 s1, 0, s45
	v_mac_f32_e32 v3, 0x4f800000, v14
	v_rcp_f32_e32 v3, v3
	v_mul_f32_e32 v3, 0x5f7ffffc, v3
	v_mul_f32_e32 v14, 0x2f800000, v3
	v_trunc_f32_e32 v14, v14
	v_mac_f32_e32 v3, 0xcf800000, v14
	v_cvt_u32_f32_e32 v14, v14
	v_cvt_u32_f32_e32 v3, v3
	v_mul_lo_u32 v15, s0, v14
	v_mul_hi_u32 v19, s0, v3
	v_mul_lo_u32 v18, s1, v3
	v_add_u32_e32 v15, v19, v15
	v_mul_lo_u32 v20, s0, v3
	v_add_u32_e32 v15, v15, v18
	v_mul_lo_u32 v19, v3, v15
	v_mul_hi_u32 v21, v3, v20
	v_mul_hi_u32 v18, v3, v15
	v_add_co_u32_e32 v19, vcc, v21, v19
	v_addc_co_u32_e32 v18, vcc, 0, v18, vcc
	v_mul_hi_u32 v22, v14, v20
	v_mul_lo_u32 v20, v14, v20
	v_add_co_u32_e32 v19, vcc, v19, v20
	v_mul_hi_u32 v21, v14, v15
	v_addc_co_u32_e32 v18, vcc, v18, v22, vcc
	v_addc_co_u32_e32 v19, vcc, 0, v21, vcc
	v_mul_lo_u32 v15, v14, v15
	v_add_co_u32_e32 v15, vcc, v18, v15
	v_addc_co_u32_e32 v18, vcc, 0, v19, vcc
	v_add_co_u32_e32 v3, vcc, v3, v15
	v_addc_co_u32_e32 v14, vcc, v14, v18, vcc
	v_mul_lo_u32 v15, s0, v14
	v_mul_hi_u32 v18, s0, v3
	v_add_u32_e32 v15, v18, v15
	v_mul_lo_u32 v18, s1, v3
	v_add_u32_e32 v15, v15, v18
	v_mul_lo_u32 v19, s0, v3
	v_mul_hi_u32 v20, v14, v19
	v_mul_lo_u32 v21, v14, v19
	v_mul_lo_u32 v23, v3, v15
	v_mul_hi_u32 v19, v3, v19
	v_mul_hi_u32 v22, v3, v15
	v_add_co_u32_e32 v19, vcc, v19, v23
	v_addc_co_u32_e32 v22, vcc, 0, v22, vcc
	v_add_co_u32_e32 v19, vcc, v19, v21
	v_mul_hi_u32 v18, v14, v15
	v_addc_co_u32_e32 v19, vcc, v22, v20, vcc
	v_addc_co_u32_e32 v18, vcc, 0, v18, vcc
	v_mul_lo_u32 v15, v14, v15
	v_add_co_u32_e32 v15, vcc, v19, v15
	v_addc_co_u32_e32 v18, vcc, 0, v18, vcc
	v_add_co_u32_e32 v3, vcc, v3, v15
	v_addc_co_u32_e32 v18, vcc, v14, v18, vcc
	v_ashrrev_i32_e32 v19, 31, v17
	v_add_co_u32_e32 v14, vcc, v16, v19
	v_addc_co_u32_e32 v15, vcc, v17, v19, vcc
	v_xor_b32_e32 v21, v14, v19
	v_xor_b32_e32 v20, v15, v19
	v_mad_u64_u32 v[14:15], s[0:1], v21, v18, 0
	v_mul_hi_u32 v16, v21, v3
	v_add_co_u32_e32 v22, vcc, v16, v14
	v_addc_co_u32_e32 v23, vcc, 0, v15, vcc
	v_mad_u64_u32 v[16:17], s[0:1], v20, v3, 0
	v_add_co_u32_e32 v3, vcc, v22, v16
	v_mad_u64_u32 v[14:15], s[0:1], v20, v18, 0
	v_addc_co_u32_e32 v3, vcc, v23, v17, vcc
	v_addc_co_u32_e32 v15, vcc, 0, v15, vcc
	v_add_co_u32_e32 v3, vcc, v3, v14
	v_addc_co_u32_e32 v16, vcc, 0, v15, vcc
	v_mul_lo_u32 v17, s45, v3
	v_mul_lo_u32 v18, s44, v16
	v_mad_u64_u32 v[14:15], s[0:1], s44, v3, 0
	v_add3_u32 v15, v15, v18, v17
	v_sub_u32_e32 v17, v20, v15
	v_mov_b32_e32 v18, s45
	v_sub_co_u32_e32 v14, vcc, v21, v14
	v_subb_co_u32_e64 v17, s[0:1], v17, v18, vcc
	v_subrev_co_u32_e64 v18, s[0:1], s44, v14
	v_subbrev_co_u32_e64 v17, s[0:1], 0, v17, s[0:1]
	v_cmp_le_u32_e64 s[0:1], s45, v17
	v_cndmask_b32_e64 v21, 0, -1, s[0:1]
	v_cmp_le_u32_e64 s[0:1], s44, v18
	v_cndmask_b32_e64 v18, 0, -1, s[0:1]
	v_cmp_eq_u32_e64 s[0:1], s45, v17
	v_cndmask_b32_e64 v17, v21, v18, s[0:1]
	v_add_co_u32_e64 v18, s[0:1], 2, v3
	v_subb_co_u32_e32 v15, vcc, v20, v15, vcc
	v_addc_co_u32_e64 v21, s[0:1], 0, v16, s[0:1]
	v_cmp_le_u32_e32 vcc, s45, v15
	v_add_co_u32_e64 v22, s[0:1], 1, v3
	v_cndmask_b32_e64 v20, 0, -1, vcc
	v_cmp_le_u32_e32 vcc, s44, v14
	v_addc_co_u32_e64 v23, s[0:1], 0, v16, s[0:1]
	v_cndmask_b32_e64 v14, 0, -1, vcc
	v_cmp_eq_u32_e32 vcc, s45, v15
	v_cmp_ne_u32_e64 s[0:1], 0, v17
	v_cndmask_b32_e32 v14, v20, v14, vcc
	v_cmp_ne_u32_e32 vcc, 0, v14
	v_cndmask_b32_e64 v15, v22, v18, s[0:1]
	v_cndmask_b32_e64 v17, v23, v21, s[0:1]
	v_cndmask_b32_e32 v3, v3, v15, vcc
	v_xor_b32_e32 v15, s42, v19
	v_cndmask_b32_e32 v14, v16, v17, vcc
	v_xor_b32_e32 v3, v3, v15
	v_xor_b32_e32 v16, v14, v15
	v_sub_co_u32_e32 v14, vcc, v3, v15
	v_subb_co_u32_e32 v15, vcc, v16, v15, vcc
                                        ; implicit-def: $vgpr16_vgpr17
.LBB13_18:                              ;   in Loop: Header=BB13_4 Depth=1
	s_andn2_saveexec_b64 s[0:1], s[2:3]
	s_cbranch_execz .LBB13_20
; %bb.19:                               ;   in Loop: Header=BB13_4 Depth=1
	v_cvt_f32_u32_e32 v3, s12
	s_sub_i32 s2, 0, s12
	v_rcp_iflag_f32_e32 v3, v3
	v_mul_f32_e32 v3, 0x4f7ffffe, v3
	v_cvt_u32_f32_e32 v3, v3
	v_mul_lo_u32 v14, s2, v3
	v_mul_hi_u32 v14, v3, v14
	v_add_u32_e32 v3, v3, v14
	v_mul_hi_u32 v3, v16, v3
	v_mul_lo_u32 v14, v3, s12
	v_sub_u32_e32 v14, v16, v14
	v_add_u32_e32 v15, 1, v3
	v_subrev_u32_e32 v16, s12, v14
	v_cmp_le_u32_e32 vcc, s12, v14
	v_cndmask_b32_e32 v14, v14, v16, vcc
	v_cndmask_b32_e32 v3, v3, v15, vcc
	v_add_u32_e32 v15, 1, v3
	v_cmp_le_u32_e32 vcc, s12, v14
	v_cndmask_b32_e32 v14, v3, v15, vcc
	v_mov_b32_e32 v15, v2
.LBB13_20:                              ;   in Loop: Header=BB13_4 Depth=1
	s_or_b64 exec, exec, s[0:1]
	v_mul_lo_u32 v3, v11, s50
	v_mul_lo_u32 v18, v10, s33
	v_mad_u64_u32 v[16:17], s[0:1], v10, s50, 0
	v_add3_u32 v3, v17, v18, v3
	v_sub_co_u32_e32 v18, vcc, v0, v16
	v_subb_co_u32_e32 v3, vcc, v1, v3, vcc
	v_mul_lo_u32 v19, v15, s12
	v_mul_lo_u32 v20, v14, s13
	v_mad_u64_u32 v[16:17], s[0:1], v14, s12, 0
	v_add3_u32 v17, v17, v20, v19
	v_sub_co_u32_e32 v24, vcc, v18, v16
	v_subb_co_u32_e32 v25, vcc, v3, v17, vcc
	;; [unrolled: 6-line block ×3, first 2 shown]
	v_mul_lo_u32 v20, s13, v3
	v_mul_lo_u32 v21, s12, v22
	v_mad_u64_u32 v[16:17], s[0:1], s12, v3, 0
	v_mad_u64_u32 v[18:19], s[0:1], s12, v3, v[0:1]
	v_add3_u32 v17, v17, v21, v20
	v_add3_u32 v19, v20, v19, v21
	v_cmp_lt_i64_e32 vcc, 0, v[14:15]
	v_cmp_ge_i64_e64 s[0:1], s[18:19], v[14:15]
	s_and_b64 s[46:47], vcc, s[0:1]
	v_cmp_eq_u64_e32 vcc, v[16:17], v[4:5]
	v_cmp_lt_i64_e64 s[0:1], s[4:5], v[18:19]
	s_or_b64 s[42:43], vcc, s[0:1]
	v_cmp_gt_i64_e32 vcc, s[28:29], v[18:19]
	v_cmp_le_i64_e64 s[0:1], s[30:31], v[18:19]
	s_and_b64 s[2:3], vcc, s[0:1]
	v_mov_b32_e32 v23, 0
	s_and_saveexec_b64 s[44:45], s[46:47]
	s_cbranch_execz .LBB13_30
; %bb.21:                               ;   in Loop: Header=BB13_4 Depth=1
	v_mov_b32_e32 v18, s19
	v_sub_co_u32_e32 v20, vcc, s18, v14
	v_subb_co_u32_e32 v18, vcc, v18, v15, vcc
	v_mov_b32_e32 v21, s5
	v_add_co_u32_e32 v23, vcc, s4, v0
	v_mul_lo_u32 v26, v18, s51
	v_mul_lo_u32 v27, v20, s52
	v_mad_u64_u32 v[18:19], s[0:1], v20, s51, v[16:17]
	v_addc_co_u32_e32 v21, vcc, v21, v1, vcc
	v_add3_u32 v19, v26, v19, v27
	v_add_co_u32_e32 v18, vcc, v23, v18
	v_addc_co_u32_e32 v19, vcc, v21, v19, vcc
	v_cmp_gt_i64_e32 vcc, s[20:21], v[18:19]
	v_mov_b32_e32 v23, 0
	s_and_saveexec_b64 s[0:1], vcc
	s_cbranch_execz .LBB13_23
; %bb.22:                               ;   in Loop: Header=BB13_4 Depth=1
	v_mul_lo_u32 v21, s55, v8
	v_mul_lo_u32 v23, s56, v9
	v_mad_u64_u32 v[28:29], s[46:47], s56, v8, 0
	v_add3_u32 v29, v29, v23, v21
	v_mul_lo_u32 v21, v13, s20
	v_mul_lo_u32 v23, v12, s21
	v_mad_u64_u32 v[30:31], s[46:47], v12, s20, 0
	v_lshlrev_b64 v[28:29], 2, v[28:29]
	v_add3_u32 v31, v31, v23, v21
	v_mov_b32_e32 v21, s11
	v_add_co_u32_e32 v23, vcc, s10, v28
	v_addc_co_u32_e32 v21, vcc, v21, v29, vcc
	v_lshlrev_b64 v[28:29], 2, v[30:31]
	v_add_co_u32_e32 v23, vcc, v23, v28
	v_addc_co_u32_e32 v21, vcc, v21, v29, vcc
	v_lshlrev_b64 v[18:19], 2, v[18:19]
	v_add_co_u32_e32 v18, vcc, v23, v18
	v_addc_co_u32_e32 v19, vcc, v21, v19, vcc
	global_load_dword v18, v[18:19], off
	s_waitcnt vmcnt(0)
	v_add_f32_e32 v23, 0, v18
.LBB13_23:                              ;   in Loop: Header=BB13_4 Depth=1
	s_or_b64 exec, exec, s[0:1]
	v_mad_u64_u32 v[20:21], s[0:1], v20, s51, 0
	v_add3_u32 v21, v21, v27, v26
	s_mov_b64 s[48:49], 0
                                        ; implicit-def: $vgpr18_vgpr19
	s_and_saveexec_b64 s[0:1], s[42:43]
	s_xor_b64 s[46:47], exec, s[0:1]
	s_cbranch_execz .LBB13_49
; %bb.24:                               ;   in Loop: Header=BB13_4 Depth=1
	s_mov_b64 s[0:1], 0
                                        ; implicit-def: $vgpr18_vgpr19
	s_and_saveexec_b64 s[48:49], s[2:3]
	s_xor_b64 s[48:49], exec, s[48:49]
	s_cbranch_execz .LBB13_26
; %bb.25:                               ;   in Loop: Header=BB13_4 Depth=1
	v_mov_b32_e32 v18, s58
	v_sub_co_u32_e32 v19, vcc, s57, v24
	v_subb_co_u32_e32 v26, vcc, v18, v25, vcc
	v_add_co_u32_e32 v18, vcc, v19, v20
	v_addc_co_u32_e32 v19, vcc, v26, v21, vcc
	v_mad_u64_u32 v[26:27], s[0:1], s14, v10, v[14:15]
	v_mul_lo_u32 v28, s14, v11
	v_mul_lo_u32 v29, s15, v10
	v_add3_u32 v27, v29, v27, v28
	v_add_co_u32_e32 v26, vcc, 2, v26
	v_addc_co_u32_e32 v27, vcc, 0, v27, vcc
	v_mul_lo_u32 v27, s12, v27
	v_mul_lo_u32 v28, s13, v26
	v_mad_u64_u32 v[20:21], s[0:1], s12, v26, v[20:21]
	v_add3_u32 v21, v28, v21, v27
	v_mov_b32_e32 v26, s5
	v_add_co_u32_e32 v27, vcc, s4, v4
	v_addc_co_u32_e32 v26, vcc, v26, v5, vcc
	v_add_co_u32_e32 v20, vcc, v27, v20
	v_addc_co_u32_e32 v21, vcc, v26, v21, vcc
	v_add_co_u32_e32 v20, vcc, -2, v20
	v_addc_co_u32_e32 v21, vcc, -1, v21, vcc
	v_cmp_lt_i64_e32 vcc, -1, v[20:21]
	v_cmp_gt_i64_e64 s[0:1], s[20:21], v[20:21]
	s_and_b64 s[0:1], vcc, s[0:1]
	s_and_b64 s[0:1], s[0:1], exec
.LBB13_26:                              ;   in Loop: Header=BB13_4 Depth=1
	s_or_b64 exec, exec, s[48:49]
	s_and_b64 s[48:49], s[0:1], exec
                                        ; implicit-def: $vgpr20_vgpr21
	s_andn2_saveexec_b64 s[46:47], s[46:47]
	s_cbranch_execnz .LBB13_50
.LBB13_27:                              ;   in Loop: Header=BB13_4 Depth=1
	s_or_b64 exec, exec, s[46:47]
	s_and_saveexec_b64 s[0:1], s[48:49]
	s_cbranch_execz .LBB13_29
.LBB13_28:                              ;   in Loop: Header=BB13_4 Depth=1
	v_mul_lo_u32 v26, s55, v8
	v_mul_lo_u32 v27, s56, v9
	v_mad_u64_u32 v[20:21], s[46:47], s56, v8, 0
	v_add3_u32 v21, v21, v27, v26
	v_mul_lo_u32 v28, v13, s20
	v_mul_lo_u32 v29, v12, s21
	v_mad_u64_u32 v[26:27], s[46:47], v12, s20, 0
	v_lshlrev_b64 v[20:21], 2, v[20:21]
	v_add3_u32 v27, v27, v29, v28
	v_mov_b32_e32 v28, s11
	v_add_co_u32_e32 v29, vcc, s10, v20
	v_addc_co_u32_e32 v28, vcc, v28, v21, vcc
	v_lshlrev_b64 v[20:21], 2, v[26:27]
	v_add_co_u32_e32 v20, vcc, v29, v20
	v_addc_co_u32_e32 v21, vcc, v28, v21, vcc
	v_lshlrev_b64 v[18:19], 2, v[18:19]
	v_add_co_u32_e32 v18, vcc, v20, v18
	v_addc_co_u32_e32 v19, vcc, v21, v19, vcc
	global_load_dword v18, v[18:19], off
	s_waitcnt vmcnt(0)
	v_add_f32_e32 v23, v23, v18
.LBB13_29:                              ;   in Loop: Header=BB13_4 Depth=1
	s_or_b64 exec, exec, s[0:1]
.LBB13_30:                              ;   in Loop: Header=BB13_4 Depth=1
	s_or_b64 exec, exec, s[44:45]
	v_cmp_gt_i64_e32 vcc, s[24:25], v[14:15]
	v_cmp_le_i64_e64 s[0:1], s[26:27], v[14:15]
	s_and_b64 s[0:1], vcc, s[0:1]
	s_and_saveexec_b64 s[44:45], s[0:1]
	s_cbranch_execz .LBB13_40
; %bb.31:                               ;   in Loop: Header=BB13_4 Depth=1
	v_mov_b32_e32 v18, s60
	v_sub_co_u32_e32 v20, vcc, s59, v14
	v_subb_co_u32_e32 v18, vcc, v18, v15, vcc
	v_mov_b32_e32 v21, s5
	v_add_co_u32_e32 v28, vcc, s4, v0
	v_mul_lo_u32 v26, s52, v20
	v_mul_lo_u32 v27, s51, v18
	v_mad_u64_u32 v[18:19], s[0:1], s51, v20, v[16:17]
	v_addc_co_u32_e32 v21, vcc, v21, v1, vcc
	v_add3_u32 v19, v26, v19, v27
	v_add_co_u32_e32 v18, vcc, v28, v18
	v_addc_co_u32_e32 v19, vcc, v21, v19, vcc
	v_cmp_lt_i64_e32 vcc, -1, v[18:19]
	v_cmp_gt_i64_e64 s[0:1], s[20:21], v[18:19]
	s_and_b64 s[46:47], vcc, s[0:1]
	s_and_saveexec_b64 s[0:1], s[46:47]
	s_cbranch_execz .LBB13_33
; %bb.32:                               ;   in Loop: Header=BB13_4 Depth=1
	v_mul_lo_u32 v21, s55, v8
	v_mul_lo_u32 v30, s56, v9
	v_mad_u64_u32 v[28:29], s[46:47], s56, v8, 0
	v_add3_u32 v29, v29, v30, v21
	v_mul_lo_u32 v21, v13, s20
	v_mul_lo_u32 v32, v12, s21
	v_mad_u64_u32 v[30:31], s[46:47], v12, s20, 0
	v_lshlrev_b64 v[28:29], 2, v[28:29]
	v_add3_u32 v31, v31, v32, v21
	v_mov_b32_e32 v21, s11
	v_add_co_u32_e32 v32, vcc, s10, v28
	v_addc_co_u32_e32 v21, vcc, v21, v29, vcc
	v_lshlrev_b64 v[28:29], 2, v[30:31]
	v_add_co_u32_e32 v28, vcc, v32, v28
	v_addc_co_u32_e32 v21, vcc, v21, v29, vcc
	v_lshlrev_b64 v[18:19], 2, v[18:19]
	v_add_co_u32_e32 v18, vcc, v28, v18
	v_addc_co_u32_e32 v19, vcc, v21, v19, vcc
	global_load_dword v18, v[18:19], off
	s_waitcnt vmcnt(0)
	v_add_f32_e32 v23, v23, v18
.LBB13_33:                              ;   in Loop: Header=BB13_4 Depth=1
	s_or_b64 exec, exec, s[0:1]
	v_mad_u64_u32 v[20:21], s[0:1], s51, v20, 0
	v_add3_u32 v21, v21, v27, v26
	s_mov_b64 s[48:49], 0
                                        ; implicit-def: $vgpr18_vgpr19
	s_and_saveexec_b64 s[0:1], s[42:43]
	s_xor_b64 s[46:47], exec, s[0:1]
	s_cbranch_execz .LBB13_51
; %bb.34:                               ;   in Loop: Header=BB13_4 Depth=1
	s_mov_b64 s[0:1], 0
                                        ; implicit-def: $vgpr18_vgpr19
	s_and_saveexec_b64 s[48:49], s[2:3]
	s_xor_b64 s[48:49], exec, s[48:49]
	s_cbranch_execz .LBB13_36
; %bb.35:                               ;   in Loop: Header=BB13_4 Depth=1
	v_mov_b32_e32 v18, s62
	v_add_co_u32_e32 v19, vcc, s61, v20
	v_addc_co_u32_e32 v26, vcc, v18, v21, vcc
	v_sub_co_u32_e32 v18, vcc, v19, v24
	v_subb_co_u32_e32 v19, vcc, v26, v25, vcc
	v_mad_u64_u32 v[24:25], s[0:1], s14, v10, v[14:15]
	v_mul_lo_u32 v26, s14, v11
	v_mul_lo_u32 v27, s15, v10
	v_add3_u32 v25, v27, v25, v26
	v_add_co_u32_e32 v24, vcc, 2, v24
	v_addc_co_u32_e32 v25, vcc, 0, v25, vcc
	v_mul_lo_u32 v25, s12, v25
	v_mul_lo_u32 v26, s13, v24
	v_mad_u64_u32 v[20:21], s[0:1], s12, v24, v[20:21]
	v_add3_u32 v21, v26, v21, v25
	v_mov_b32_e32 v24, s5
	v_add_co_u32_e32 v25, vcc, s4, v4
	v_addc_co_u32_e32 v24, vcc, v24, v5, vcc
	v_add_co_u32_e32 v20, vcc, v25, v20
	v_addc_co_u32_e32 v21, vcc, v24, v21, vcc
	v_add_co_u32_e32 v20, vcc, -2, v20
	v_addc_co_u32_e32 v21, vcc, -1, v21, vcc
	v_cmp_lt_i64_e32 vcc, -1, v[20:21]
	v_cmp_gt_i64_e64 s[0:1], s[20:21], v[20:21]
	s_and_b64 s[0:1], vcc, s[0:1]
	s_and_b64 s[0:1], s[0:1], exec
.LBB13_36:                              ;   in Loop: Header=BB13_4 Depth=1
	s_or_b64 exec, exec, s[48:49]
	s_and_b64 s[48:49], s[0:1], exec
                                        ; implicit-def: $vgpr20_vgpr21
	s_andn2_saveexec_b64 s[46:47], s[46:47]
	s_cbranch_execnz .LBB13_52
.LBB13_37:                              ;   in Loop: Header=BB13_4 Depth=1
	s_or_b64 exec, exec, s[46:47]
	s_and_saveexec_b64 s[0:1], s[48:49]
	s_cbranch_execz .LBB13_39
.LBB13_38:                              ;   in Loop: Header=BB13_4 Depth=1
	v_mul_lo_u32 v24, s55, v8
	v_mul_lo_u32 v25, s56, v9
	v_mad_u64_u32 v[20:21], s[46:47], s56, v8, 0
	v_add3_u32 v21, v21, v25, v24
	v_mul_lo_u32 v26, v13, s20
	v_mul_lo_u32 v27, v12, s21
	v_mad_u64_u32 v[24:25], s[46:47], v12, s20, 0
	v_lshlrev_b64 v[20:21], 2, v[20:21]
	v_add3_u32 v25, v25, v27, v26
	v_mov_b32_e32 v26, s11
	v_add_co_u32_e32 v27, vcc, s10, v20
	v_addc_co_u32_e32 v26, vcc, v26, v21, vcc
	v_lshlrev_b64 v[20:21], 2, v[24:25]
	v_add_co_u32_e32 v20, vcc, v27, v20
	v_addc_co_u32_e32 v21, vcc, v26, v21, vcc
	v_lshlrev_b64 v[18:19], 2, v[18:19]
	v_add_co_u32_e32 v18, vcc, v20, v18
	v_addc_co_u32_e32 v19, vcc, v21, v19, vcc
	global_load_dword v18, v[18:19], off
	s_waitcnt vmcnt(0)
	v_add_f32_e32 v23, v23, v18
.LBB13_39:                              ;   in Loop: Header=BB13_4 Depth=1
	s_or_b64 exec, exec, s[0:1]
.LBB13_40:                              ;   in Loop: Header=BB13_4 Depth=1
	s_or_b64 exec, exec, s[44:45]
                                        ; implicit-def: $vgpr18_vgpr19
	s_and_saveexec_b64 s[0:1], s[42:43]
	s_xor_b64 s[0:1], exec, s[0:1]
	s_cbranch_execz .LBB13_43
; %bb.41:                               ;   in Loop: Header=BB13_4 Depth=1
	v_mov_b32_e32 v16, s19
	v_add_co_u32_e32 v17, vcc, s18, v14
	v_addc_co_u32_e32 v16, vcc, v15, v16, vcc
	v_mul_lo_u32 v16, v16, s51
	v_mul_lo_u32 v20, v17, s52
	v_mad_u64_u32 v[18:19], s[42:43], v17, s51, 0
	v_add3_u32 v19, v19, v20, v16
                                        ; implicit-def: $vgpr16_vgpr17
	s_andn2_saveexec_b64 s[42:43], s[0:1]
	s_cbranch_execnz .LBB13_44
.LBB13_42:                              ;   in Loop: Header=BB13_4 Depth=1
	s_or_b64 exec, exec, s[42:43]
	s_and_saveexec_b64 s[42:43], s[2:3]
	s_cbranch_execz .LBB13_3
	s_branch .LBB13_47
.LBB13_43:                              ;   in Loop: Header=BB13_4 Depth=1
	s_andn2_saveexec_b64 s[42:43], s[0:1]
	s_cbranch_execz .LBB13_42
.LBB13_44:                              ;   in Loop: Header=BB13_4 Depth=1
	v_mov_b32_e32 v18, s19
	v_add_co_u32_e32 v19, vcc, s18, v14
	v_addc_co_u32_e32 v18, vcc, v15, v18, vcc
	v_mul_lo_u32 v20, v18, s51
	v_mul_lo_u32 v21, v19, s52
	v_mad_u64_u32 v[18:19], s[0:1], v19, s51, 0
	v_add3_u32 v19, v19, v21, v20
	v_sub_co_u32_e32 v16, vcc, v18, v16
	v_subb_co_u32_e32 v17, vcc, v19, v17, vcc
	v_mov_b32_e32 v20, s5
	v_add_co_u32_e32 v21, vcc, s4, v4
	v_addc_co_u32_e32 v20, vcc, v20, v5, vcc
	v_add_co_u32_e32 v16, vcc, v21, v16
	v_addc_co_u32_e32 v17, vcc, v20, v17, vcc
	v_cmp_lt_i64_e32 vcc, -1, v[16:17]
	v_cmp_gt_i64_e64 s[0:1], s[20:21], v[16:17]
	s_and_b64 s[44:45], vcc, s[0:1]
	s_and_saveexec_b64 s[0:1], s[44:45]
	s_cbranch_execz .LBB13_46
; %bb.45:                               ;   in Loop: Header=BB13_4 Depth=1
	v_mul_lo_u32 v24, s55, v8
	v_mul_lo_u32 v25, s56, v9
	v_mad_u64_u32 v[20:21], s[44:45], s56, v8, 0
	v_add3_u32 v21, v21, v25, v24
	v_mul_lo_u32 v26, v13, s20
	v_mul_lo_u32 v27, v12, s21
	v_mad_u64_u32 v[24:25], s[44:45], v12, s20, 0
	v_lshlrev_b64 v[20:21], 2, v[20:21]
	v_add3_u32 v25, v25, v27, v26
	v_mov_b32_e32 v26, s11
	v_add_co_u32_e32 v27, vcc, s10, v20
	v_addc_co_u32_e32 v26, vcc, v26, v21, vcc
	v_lshlrev_b64 v[20:21], 2, v[24:25]
	v_add_co_u32_e32 v20, vcc, v27, v20
	v_addc_co_u32_e32 v21, vcc, v26, v21, vcc
	v_lshlrev_b64 v[16:17], 2, v[16:17]
	v_add_co_u32_e32 v16, vcc, v20, v16
	v_addc_co_u32_e32 v17, vcc, v21, v17, vcc
	global_load_dword v16, v[16:17], off
	s_waitcnt vmcnt(0)
	v_add_f32_e32 v23, v23, v16
.LBB13_46:                              ;   in Loop: Header=BB13_4 Depth=1
	s_or_b64 exec, exec, s[0:1]
	s_or_b64 exec, exec, s[42:43]
	s_and_saveexec_b64 s[42:43], s[2:3]
	s_cbranch_execz .LBB13_3
.LBB13_47:                              ;   in Loop: Header=BB13_4 Depth=1
	v_mad_u64_u32 v[14:15], s[0:1], s14, v10, v[14:15]
	v_mul_lo_u32 v11, s14, v11
	v_mul_lo_u32 v10, s15, v10
	v_add3_u32 v10, v10, v15, v11
	v_add_co_u32_e32 v11, vcc, 2, v14
	v_addc_co_u32_e32 v10, vcc, 0, v10, vcc
	v_mul_lo_u32 v14, s12, v10
	v_mul_lo_u32 v15, s13, v11
	v_mad_u64_u32 v[10:11], s[0:1], s12, v11, v[18:19]
	v_add3_u32 v11, v15, v11, v14
	v_mov_b32_e32 v14, s5
	v_add_co_u32_e32 v15, vcc, s4, v4
	v_addc_co_u32_e32 v14, vcc, v14, v5, vcc
	v_add_co_u32_e32 v10, vcc, v15, v10
	v_addc_co_u32_e32 v11, vcc, v14, v11, vcc
	v_add_co_u32_e32 v10, vcc, -2, v10
	v_addc_co_u32_e32 v11, vcc, -1, v11, vcc
	v_cmp_lt_i64_e32 vcc, -1, v[10:11]
	v_cmp_gt_i64_e64 s[0:1], s[20:21], v[10:11]
	s_and_b64 s[2:3], vcc, s[0:1]
	s_and_saveexec_b64 s[0:1], s[2:3]
	s_cbranch_execz .LBB13_2
; %bb.48:                               ;   in Loop: Header=BB13_4 Depth=1
	v_mul_lo_u32 v16, s55, v8
	v_mul_lo_u32 v17, s56, v9
	v_mad_u64_u32 v[14:15], s[2:3], s56, v8, 0
	v_add3_u32 v15, v15, v17, v16
	v_mul_lo_u32 v20, v13, s20
	v_mul_lo_u32 v21, v12, s21
	v_mad_u64_u32 v[16:17], s[2:3], v12, s20, 0
	v_lshlrev_b64 v[14:15], 2, v[14:15]
	v_add3_u32 v17, v17, v21, v20
	v_mov_b32_e32 v20, s11
	v_add_co_u32_e32 v21, vcc, s10, v14
	v_addc_co_u32_e32 v20, vcc, v20, v15, vcc
	v_lshlrev_b64 v[14:15], 2, v[16:17]
	v_add_co_u32_e32 v14, vcc, v21, v14
	v_addc_co_u32_e32 v15, vcc, v20, v15, vcc
	v_lshlrev_b64 v[10:11], 2, v[10:11]
	v_add_co_u32_e32 v10, vcc, v14, v10
	v_addc_co_u32_e32 v11, vcc, v15, v11, vcc
	global_load_dword v10, v[10:11], off
	s_waitcnt vmcnt(0)
	v_add_f32_e32 v23, v23, v10
	s_branch .LBB13_2
.LBB13_49:                              ;   in Loop: Header=BB13_4 Depth=1
	s_andn2_saveexec_b64 s[46:47], s[46:47]
	s_cbranch_execz .LBB13_27
.LBB13_50:                              ;   in Loop: Header=BB13_4 Depth=1
	v_sub_co_u32_e32 v18, vcc, v20, v16
	v_subb_co_u32_e32 v19, vcc, v21, v17, vcc
	v_mov_b32_e32 v20, s5
	v_add_co_u32_e32 v21, vcc, s4, v4
	v_addc_co_u32_e32 v20, vcc, v20, v5, vcc
	v_add_co_u32_e32 v18, vcc, v21, v18
	v_addc_co_u32_e32 v19, vcc, v20, v19, vcc
	v_cmp_lt_i64_e32 vcc, -1, v[18:19]
	v_cmp_gt_i64_e64 s[0:1], s[20:21], v[18:19]
	s_and_b64 s[0:1], vcc, s[0:1]
	s_andn2_b64 s[48:49], s[48:49], exec
	s_and_b64 s[0:1], s[0:1], exec
	s_or_b64 s[48:49], s[48:49], s[0:1]
	s_or_b64 exec, exec, s[46:47]
	s_and_saveexec_b64 s[0:1], s[48:49]
	s_cbranch_execnz .LBB13_28
	s_branch .LBB13_29
.LBB13_51:                              ;   in Loop: Header=BB13_4 Depth=1
	s_andn2_saveexec_b64 s[46:47], s[46:47]
	s_cbranch_execz .LBB13_37
.LBB13_52:                              ;   in Loop: Header=BB13_4 Depth=1
	v_sub_co_u32_e32 v18, vcc, v20, v16
	v_subb_co_u32_e32 v19, vcc, v21, v17, vcc
	v_mov_b32_e32 v20, s5
	v_add_co_u32_e32 v21, vcc, s4, v4
	v_addc_co_u32_e32 v20, vcc, v20, v5, vcc
	v_add_co_u32_e32 v18, vcc, v21, v18
	v_addc_co_u32_e32 v19, vcc, v20, v19, vcc
	v_cmp_lt_i64_e32 vcc, -1, v[18:19]
	v_cmp_gt_i64_e64 s[0:1], s[20:21], v[18:19]
	s_and_b64 s[0:1], vcc, s[0:1]
	s_andn2_b64 s[48:49], s[48:49], exec
	s_and_b64 s[0:1], s[0:1], exec
	s_or_b64 s[48:49], s[48:49], s[0:1]
	s_or_b64 exec, exec, s[46:47]
	s_and_saveexec_b64 s[0:1], s[48:49]
	s_cbranch_execnz .LBB13_38
	s_branch .LBB13_39
.LBB13_53:
	s_endpgm
	.section	.rodata,"a",@progbits
	.p2align	6, 0x0
	.amdhsa_kernel _ZN2at6native12_GLOBAL__N_140reflection_pad2d_backward_det_out_kernelIfEEvPT_PKS3_lliiiiiii
		.amdhsa_group_segment_fixed_size 0
		.amdhsa_private_segment_fixed_size 0
		.amdhsa_kernarg_size 320
		.amdhsa_user_sgpr_count 6
		.amdhsa_user_sgpr_private_segment_buffer 1
		.amdhsa_user_sgpr_dispatch_ptr 0
		.amdhsa_user_sgpr_queue_ptr 0
		.amdhsa_user_sgpr_kernarg_segment_ptr 1
		.amdhsa_user_sgpr_dispatch_id 0
		.amdhsa_user_sgpr_flat_scratch_init 0
		.amdhsa_user_sgpr_kernarg_preload_length 0
		.amdhsa_user_sgpr_kernarg_preload_offset 0
		.amdhsa_user_sgpr_private_segment_size 0
		.amdhsa_uses_dynamic_stack 0
		.amdhsa_system_sgpr_private_segment_wavefront_offset 0
		.amdhsa_system_sgpr_workgroup_id_x 1
		.amdhsa_system_sgpr_workgroup_id_y 0
		.amdhsa_system_sgpr_workgroup_id_z 0
		.amdhsa_system_sgpr_workgroup_info 0
		.amdhsa_system_vgpr_workitem_id 0
		.amdhsa_next_free_vgpr 33
		.amdhsa_next_free_sgpr 69
		.amdhsa_accum_offset 36
		.amdhsa_reserve_vcc 1
		.amdhsa_reserve_flat_scratch 0
		.amdhsa_float_round_mode_32 0
		.amdhsa_float_round_mode_16_64 0
		.amdhsa_float_denorm_mode_32 3
		.amdhsa_float_denorm_mode_16_64 3
		.amdhsa_dx10_clamp 1
		.amdhsa_ieee_mode 1
		.amdhsa_fp16_overflow 0
		.amdhsa_tg_split 0
		.amdhsa_exception_fp_ieee_invalid_op 0
		.amdhsa_exception_fp_denorm_src 0
		.amdhsa_exception_fp_ieee_div_zero 0
		.amdhsa_exception_fp_ieee_overflow 0
		.amdhsa_exception_fp_ieee_underflow 0
		.amdhsa_exception_fp_ieee_inexact 0
		.amdhsa_exception_int_div_zero 0
	.end_amdhsa_kernel
	.section	.text._ZN2at6native12_GLOBAL__N_140reflection_pad2d_backward_det_out_kernelIfEEvPT_PKS3_lliiiiiii,"axG",@progbits,_ZN2at6native12_GLOBAL__N_140reflection_pad2d_backward_det_out_kernelIfEEvPT_PKS3_lliiiiiii,comdat
.Lfunc_end13:
	.size	_ZN2at6native12_GLOBAL__N_140reflection_pad2d_backward_det_out_kernelIfEEvPT_PKS3_lliiiiiii, .Lfunc_end13-_ZN2at6native12_GLOBAL__N_140reflection_pad2d_backward_det_out_kernelIfEEvPT_PKS3_lliiiiiii
                                        ; -- End function
	.section	.AMDGPU.csdata,"",@progbits
; Kernel info:
; codeLenInByte = 6084
; NumSgprs: 73
; NumVgprs: 33
; NumAgprs: 0
; TotalNumVgprs: 33
; ScratchSize: 0
; MemoryBound: 0
; FloatMode: 240
; IeeeMode: 1
; LDSByteSize: 0 bytes/workgroup (compile time only)
; SGPRBlocks: 9
; VGPRBlocks: 4
; NumSGPRsForWavesPerEU: 73
; NumVGPRsForWavesPerEU: 33
; AccumOffset: 36
; Occupancy: 8
; WaveLimiterHint : 0
; COMPUTE_PGM_RSRC2:SCRATCH_EN: 0
; COMPUTE_PGM_RSRC2:USER_SGPR: 6
; COMPUTE_PGM_RSRC2:TRAP_HANDLER: 0
; COMPUTE_PGM_RSRC2:TGID_X_EN: 1
; COMPUTE_PGM_RSRC2:TGID_Y_EN: 0
; COMPUTE_PGM_RSRC2:TGID_Z_EN: 0
; COMPUTE_PGM_RSRC2:TIDIG_COMP_CNT: 0
; COMPUTE_PGM_RSRC3_GFX90A:ACCUM_OFFSET: 8
; COMPUTE_PGM_RSRC3_GFX90A:TG_SPLIT: 0
	.section	.text._ZN2at6native12_GLOBAL__N_136reflection_pad2d_backward_out_kernelIfEEvPT_PKS3_lliiiiiii,"axG",@progbits,_ZN2at6native12_GLOBAL__N_136reflection_pad2d_backward_out_kernelIfEEvPT_PKS3_lliiiiiii,comdat
	.globl	_ZN2at6native12_GLOBAL__N_136reflection_pad2d_backward_out_kernelIfEEvPT_PKS3_lliiiiiii ; -- Begin function _ZN2at6native12_GLOBAL__N_136reflection_pad2d_backward_out_kernelIfEEvPT_PKS3_lliiiiiii
	.p2align	8
	.type	_ZN2at6native12_GLOBAL__N_136reflection_pad2d_backward_out_kernelIfEEvPT_PKS3_lliiiiiii,@function
_ZN2at6native12_GLOBAL__N_136reflection_pad2d_backward_out_kernelIfEEvPT_PKS3_lliiiiiii: ; @_ZN2at6native12_GLOBAL__N_136reflection_pad2d_backward_out_kernelIfEEvPT_PKS3_lliiiiiii
; %bb.0:
	s_load_dword s0, s[4:5], 0x4c
	s_load_dwordx4 s[20:23], s[4:5], 0x20
	s_load_dwordx8 s[12:19], s[4:5], 0x0
	v_mov_b32_e32 v1, 0
	s_waitcnt lgkmcnt(0)
	s_and_b32 s0, s0, 0xffff
	s_mul_i32 s6, s6, s0
	s_ashr_i32 s3, s22, 31
	v_add_u32_e32 v0, s6, v0
	s_add_u32 s6, s22, s16
	s_addc_u32 s9, s3, s17
	s_ashr_i32 s0, s23, 31
	s_add_u32 s33, s6, s23
	s_addc_u32 s25, s9, s0
	s_ashr_i32 s11, s20, 31
	;; [unrolled: 3-line block ×3, first 2 shown]
	s_add_u32 s34, s30, s21
	s_addc_u32 s35, s31, s0
	s_mul_i32 s0, s33, s35
	s_mul_hi_u32 s1, s33, s34
	s_add_i32 s0, s1, s0
	s_mul_i32 s1, s25, s34
	s_add_i32 s1, s0, s1
	s_mul_i32 s0, s33, s34
	v_cmp_gt_i64_e32 vcc, s[0:1], v[0:1]
	s_and_saveexec_b64 s[0:1], vcc
	s_cbranch_execz .LBB14_5
; %bb.1:
	s_mov_b32 s2, s22
	s_mov_b32 s10, s20
	s_load_dwordx4 s[20:23], s[4:5], 0x30
	s_mov_b32 s24, 0
	s_cmp_lg_u64 s[24:25], 0
	s_cbranch_scc0 .LBB14_6
; %bb.2:
	s_ashr_i32 s26, s25, 31
	s_add_u32 s0, s33, s26
	s_mov_b32 s27, s26
	s_addc_u32 s1, s25, s26
	s_xor_b64 s[28:29], s[0:1], s[26:27]
	v_cvt_f32_u32_e32 v1, s28
	v_cvt_f32_u32_e32 v2, s29
	s_sub_u32 s0, 0, s28
	s_subb_u32 s1, 0, s29
	v_madmk_f32 v1, v2, 0x4f800000, v1
	v_rcp_f32_e32 v1, v1
	v_mul_f32_e32 v1, 0x5f7ffffc, v1
	v_mul_f32_e32 v2, 0x2f800000, v1
	v_trunc_f32_e32 v2, v2
	v_madmk_f32 v1, v2, 0xcf800000, v1
	v_cvt_u32_f32_e32 v2, v2
	v_cvt_u32_f32_e32 v1, v1
	v_mul_lo_u32 v3, s0, v2
	v_mul_hi_u32 v5, s0, v1
	v_mul_lo_u32 v4, s1, v1
	v_add_u32_e32 v3, v5, v3
	v_add_u32_e32 v3, v3, v4
	v_mul_lo_u32 v6, s0, v1
	v_mul_lo_u32 v5, v1, v3
	v_mul_hi_u32 v7, v1, v6
	v_mul_hi_u32 v4, v1, v3
	v_add_co_u32_e32 v5, vcc, v7, v5
	v_addc_co_u32_e32 v4, vcc, 0, v4, vcc
	v_mul_hi_u32 v8, v2, v6
	v_mul_lo_u32 v6, v2, v6
	v_add_co_u32_e32 v5, vcc, v5, v6
	v_mul_hi_u32 v7, v2, v3
	v_addc_co_u32_e32 v4, vcc, v4, v8, vcc
	v_addc_co_u32_e32 v5, vcc, 0, v7, vcc
	v_mul_lo_u32 v3, v2, v3
	v_add_co_u32_e32 v3, vcc, v4, v3
	v_addc_co_u32_e32 v4, vcc, 0, v5, vcc
	v_add_co_u32_e32 v1, vcc, v1, v3
	v_addc_co_u32_e32 v2, vcc, v2, v4, vcc
	v_mul_lo_u32 v3, s0, v2
	v_mul_hi_u32 v4, s0, v1
	v_add_u32_e32 v3, v4, v3
	v_mul_lo_u32 v4, s1, v1
	v_add_u32_e32 v3, v3, v4
	v_mul_lo_u32 v5, s0, v1
	v_mul_hi_u32 v6, v2, v5
	v_mul_lo_u32 v7, v2, v5
	v_mul_lo_u32 v9, v1, v3
	v_mul_hi_u32 v5, v1, v5
	v_mul_hi_u32 v8, v1, v3
	v_add_co_u32_e32 v5, vcc, v5, v9
	v_addc_co_u32_e32 v8, vcc, 0, v8, vcc
	v_add_co_u32_e32 v5, vcc, v5, v7
	v_mul_hi_u32 v4, v2, v3
	v_addc_co_u32_e32 v5, vcc, v8, v6, vcc
	v_addc_co_u32_e32 v4, vcc, 0, v4, vcc
	v_mul_lo_u32 v3, v2, v3
	v_add_co_u32_e32 v3, vcc, v5, v3
	v_addc_co_u32_e32 v4, vcc, 0, v4, vcc
	v_add_co_u32_e32 v1, vcc, v1, v3
	v_addc_co_u32_e32 v4, vcc, v2, v4, vcc
	v_ashrrev_i32_e64 v6, 31, 0
	v_add_co_u32_e32 v2, vcc, v0, v6
	v_addc_co_u32_e32 v3, vcc, 0, v6, vcc
	v_xor_b32_e32 v8, v2, v6
	v_xor_b32_e32 v7, v3, v6
	v_mad_u64_u32 v[2:3], s[0:1], v8, v4, 0
	v_mul_hi_u32 v5, v8, v1
	v_add_co_u32_e32 v9, vcc, v5, v2
	v_addc_co_u32_e32 v10, vcc, 0, v3, vcc
	v_mad_u64_u32 v[2:3], s[0:1], v7, v4, 0
	v_mad_u64_u32 v[4:5], s[0:1], v7, v1, 0
	v_add_co_u32_e32 v1, vcc, v9, v4
	v_addc_co_u32_e32 v1, vcc, v10, v5, vcc
	v_addc_co_u32_e32 v3, vcc, 0, v3, vcc
	v_add_co_u32_e32 v1, vcc, v1, v2
	v_addc_co_u32_e32 v4, vcc, 0, v3, vcc
	v_mul_lo_u32 v5, s29, v1
	v_mul_lo_u32 v9, s28, v4
	v_mad_u64_u32 v[2:3], s[0:1], s28, v1, 0
	v_add3_u32 v3, v3, v9, v5
	v_sub_u32_e32 v5, v7, v3
	v_mov_b32_e32 v9, s29
	v_sub_co_u32_e32 v2, vcc, v8, v2
	v_subb_co_u32_e64 v5, s[0:1], v5, v9, vcc
	v_subrev_co_u32_e64 v8, s[0:1], s28, v2
	v_subbrev_co_u32_e64 v5, s[0:1], 0, v5, s[0:1]
	v_cmp_le_u32_e64 s[0:1], s29, v5
	v_cndmask_b32_e64 v9, 0, -1, s[0:1]
	v_cmp_le_u32_e64 s[0:1], s28, v8
	v_cndmask_b32_e64 v8, 0, -1, s[0:1]
	v_cmp_eq_u32_e64 s[0:1], s29, v5
	v_cndmask_b32_e64 v5, v9, v8, s[0:1]
	v_add_co_u32_e64 v8, s[0:1], 2, v1
	v_subb_co_u32_e32 v3, vcc, v7, v3, vcc
	v_addc_co_u32_e64 v9, s[0:1], 0, v4, s[0:1]
	v_cmp_le_u32_e32 vcc, s29, v3
	v_add_co_u32_e64 v10, s[0:1], 1, v1
	v_cndmask_b32_e64 v7, 0, -1, vcc
	v_cmp_le_u32_e32 vcc, s28, v2
	v_addc_co_u32_e64 v11, s[0:1], 0, v4, s[0:1]
	v_cndmask_b32_e64 v2, 0, -1, vcc
	v_cmp_eq_u32_e32 vcc, s29, v3
	v_cmp_ne_u32_e64 s[0:1], 0, v5
	v_cndmask_b32_e32 v2, v7, v2, vcc
	v_cmp_ne_u32_e32 vcc, 0, v2
	v_cndmask_b32_e64 v3, v10, v8, s[0:1]
	v_cndmask_b32_e64 v5, v11, v9, s[0:1]
	v_cndmask_b32_e32 v1, v1, v3, vcc
	v_xor_b32_e32 v3, s26, v6
	v_cndmask_b32_e32 v2, v4, v5, vcc
	v_xor_b32_e32 v1, v1, v3
	v_xor_b32_e32 v4, v2, v3
	v_sub_co_u32_e32 v2, vcc, v1, v3
	v_subb_co_u32_e32 v3, vcc, v4, v3, vcc
	s_cbranch_execnz .LBB14_4
.LBB14_3:
	v_cvt_f32_u32_e32 v1, s33
	s_sub_i32 s0, 0, s33
	v_rcp_iflag_f32_e32 v1, v1
	v_mul_f32_e32 v1, 0x4f7ffffe, v1
	v_cvt_u32_f32_e32 v1, v1
	v_mul_lo_u32 v2, s0, v1
	v_mul_hi_u32 v2, v1, v2
	v_add_u32_e32 v1, v1, v2
	v_mul_hi_u32 v1, v0, v1
	v_mul_lo_u32 v2, v1, s33
	v_sub_u32_e32 v2, v0, v2
	v_add_u32_e32 v3, 1, v1
	v_subrev_u32_e32 v4, s33, v2
	v_cmp_le_u32_e32 vcc, s33, v2
	v_cndmask_b32_e32 v2, v2, v4, vcc
	v_cndmask_b32_e32 v1, v1, v3, vcc
	v_add_u32_e32 v3, 1, v1
	v_cmp_le_u32_e32 vcc, s33, v2
	v_cndmask_b32_e32 v2, v1, v3, vcc
	v_mov_b32_e32 v3, 0
.LBB14_4:
	s_sub_u32 s0, 0, s10
	s_subb_u32 s1, 0, s11
	s_sub_u32 s4, 0, s2
	s_subb_u32 s5, 0, s3
	s_waitcnt lgkmcnt(0)
	s_add_i32 s8, s8, s21
	s_add_i32 s7, s7, s20
	s_mul_i32 s8, s8, s22
	s_add_i32 s7, s7, s8
	s_mul_i32 s8, s7, s19
	s_mul_hi_u32 s19, s7, s18
	s_add_i32 s8, s19, s8
	s_mul_i32 s20, s7, s18
	v_mul_lo_u32 v1, v3, s33
	v_mul_lo_u32 v6, v2, s25
	v_mad_u64_u32 v[4:5], s[18:19], v2, s33, 0
	v_add3_u32 v1, v5, v6, v1
	v_sub_co_u32_e32 v0, vcc, v0, v4
	v_subb_co_u32_e32 v1, vcc, 0, v1, vcc
	v_mov_b32_e32 v5, s3
	v_subrev_co_u32_e32 v4, vcc, s2, v0
	v_subb_co_u32_e32 v5, vcc, v1, v5, vcc
	v_ashrrev_i32_e32 v6, 31, v5
	v_xor_b32_e32 v4, v4, v6
	v_xor_b32_e32 v5, v5, v6
	v_sub_co_u32_e32 v4, vcc, v4, v6
	v_subb_co_u32_e32 v5, vcc, v5, v6, vcc
	v_mov_b32_e32 v6, s9
	v_subrev_co_u32_e32 v7, vcc, s6, v0
	v_subb_co_u32_e32 v6, vcc, v1, v6, vcc
	v_add_co_u32_e32 v7, vcc, 1, v7
	v_addc_co_u32_e32 v6, vcc, 0, v6, vcc
	v_ashrrev_i32_e32 v8, 31, v6
	v_xor_b32_e32 v7, v7, v8
	v_xor_b32_e32 v6, v6, v8
	v_sub_co_u32_e32 v9, vcc, v7, v8
	v_subb_co_u32_e32 v8, vcc, v6, v8, vcc
	v_mov_b32_e32 v6, s11
	v_subrev_co_u32_e32 v10, vcc, s10, v2
	v_subb_co_u32_e32 v6, vcc, v3, v6, vcc
	v_ashrrev_i32_e32 v11, 31, v6
	v_cmp_gt_i64_e64 s[18:19], s[4:5], 0
	v_xor_b32_e32 v12, v6, v11
	v_mov_b32_e32 v6, s7
	s_and_b64 s[18:19], s[18:19], exec
	s_mul_i32 s35, s35, s7
	v_mad_u64_u32 v[6:7], s[18:19], s34, v6, v[2:3]
	v_add_u32_e32 v7, s35, v7
	v_mul_lo_u32 v13, v7, s33
	v_mul_lo_u32 v14, v6, s25
	v_mad_u64_u32 v[6:7], s[18:19], v6, s33, 0
	v_add3_u32 v7, v7, v14, v13
	v_lshlrev_b64 v[6:7], 2, v[6:7]
	v_mov_b32_e32 v13, s15
	v_add_co_u32_e32 v14, vcc, s14, v6
	v_addc_co_u32_e32 v13, vcc, v13, v7, vcc
	v_lshlrev_b64 v[6:7], 2, v[0:1]
	v_add_co_u32_e32 v6, vcc, v14, v6
	v_addc_co_u32_e32 v7, vcc, v13, v7, vcc
	global_load_dword v6, v[6:7], off
	s_cselect_b32 s21, s5, 0
	s_cselect_b32 s22, s4, 0
	v_cmp_gt_i64_e64 s[4:5], s[0:1], 0
	s_and_b64 s[4:5], s[4:5], exec
	s_cselect_b32 s23, s1, 0
	s_cselect_b32 s24, s0, 0
	v_cmp_gt_i64_e64 s[0:1], s[2:3], 0
	s_and_b64 s[0:1], s[0:1], exec
	v_xor_b32_e32 v7, v10, v11
	v_cmp_gt_i64_e64 s[0:1], s[10:11], 0
	v_sub_co_u32_e32 v7, vcc, v7, v11
	s_cselect_b32 s5, s3, 0
	s_cselect_b32 s4, s2, 0
	s_and_b64 s[0:1], s[0:1], exec
	v_subb_co_u32_e32 v10, vcc, v12, v11, vcc
	s_cselect_b32 s1, s11, 0
	s_cselect_b32 s0, s10, 0
	v_mov_b32_e32 v11, s31
	v_subrev_co_u32_e32 v12, vcc, s30, v2
	s_not_b64 s[4:5], s[4:5]
	v_subb_co_u32_e32 v11, vcc, v3, v11, vcc
	s_not_b64 s[0:1], s[0:1]
	v_add_co_u32_e32 v12, vcc, 1, v12
	s_add_u32 s7, s30, s10
	v_addc_co_u32_e32 v11, vcc, 0, v11, vcc
	s_addc_u32 s10, s31, s11
	v_ashrrev_i32_e32 v13, 31, v11
	s_add_u32 s0, s7, s0
	v_xor_b32_e32 v12, v12, v13
	s_addc_u32 s1, s10, s1
	v_xor_b32_e32 v11, v11, v13
	v_sub_co_u32_e32 v12, vcc, v12, v13
	s_add_u32 s0, s0, s24
	v_subb_co_u32_e32 v11, vcc, v11, v13, vcc
	s_addc_u32 s1, s1, s23
	s_add_u32 s0, s0, s20
	v_add_co_u32_e32 v2, vcc, v2, v12
	s_addc_u32 s1, s1, s8
	v_addc_co_u32_e32 v3, vcc, v3, v11, vcc
	v_mov_b32_e32 v11, s1
	v_sub_co_u32_e32 v2, vcc, s0, v2
	v_subb_co_u32_e32 v3, vcc, v11, v3, vcc
	v_add_co_u32_e32 v2, vcc, v2, v7
	v_addc_co_u32_e32 v3, vcc, v3, v10, vcc
	v_mul_lo_u32 v7, v3, s16
	v_mul_lo_u32 v10, v2, s17
	v_mad_u64_u32 v[2:3], s[0:1], v2, s16, 0
	s_add_u32 s0, s6, s2
	s_addc_u32 s1, s9, s3
	s_add_u32 s0, s0, s4
	s_addc_u32 s1, s1, s5
	s_add_u32 s0, s0, s22
	v_add_co_u32_e32 v0, vcc, v0, v9
	s_addc_u32 s1, s1, s21
	v_addc_co_u32_e32 v1, vcc, v1, v8, vcc
	v_add3_u32 v3, v3, v10, v7
	v_mov_b32_e32 v7, s1
	v_sub_co_u32_e32 v0, vcc, s0, v0
	v_subb_co_u32_e32 v1, vcc, v7, v1, vcc
	v_lshlrev_b64 v[0:1], 2, v[0:1]
	v_mov_b32_e32 v7, s13
	v_add_co_u32_e32 v8, vcc, s12, v0
	v_addc_co_u32_e32 v7, vcc, v7, v1, vcc
	v_lshlrev_b64 v[0:1], 2, v[4:5]
	v_add_co_u32_e32 v4, vcc, v8, v0
	v_addc_co_u32_e32 v5, vcc, v7, v1, vcc
	v_lshlrev_b64 v[0:1], 2, v[2:3]
	v_add_co_u32_e32 v0, vcc, v4, v0
	v_addc_co_u32_e32 v1, vcc, v5, v1, vcc
	s_waitcnt vmcnt(0)
	global_atomic_add_f32 v[0:1], v6, off
.LBB14_5:
	s_endpgm
.LBB14_6:
                                        ; implicit-def: $vgpr2_vgpr3
	s_branch .LBB14_3
	.section	.rodata,"a",@progbits
	.p2align	6, 0x0
	.amdhsa_kernel _ZN2at6native12_GLOBAL__N_136reflection_pad2d_backward_out_kernelIfEEvPT_PKS3_lliiiiiii
		.amdhsa_group_segment_fixed_size 0
		.amdhsa_private_segment_fixed_size 0
		.amdhsa_kernarg_size 320
		.amdhsa_user_sgpr_count 6
		.amdhsa_user_sgpr_private_segment_buffer 1
		.amdhsa_user_sgpr_dispatch_ptr 0
		.amdhsa_user_sgpr_queue_ptr 0
		.amdhsa_user_sgpr_kernarg_segment_ptr 1
		.amdhsa_user_sgpr_dispatch_id 0
		.amdhsa_user_sgpr_flat_scratch_init 0
		.amdhsa_user_sgpr_kernarg_preload_length 0
		.amdhsa_user_sgpr_kernarg_preload_offset 0
		.amdhsa_user_sgpr_private_segment_size 0
		.amdhsa_uses_dynamic_stack 0
		.amdhsa_system_sgpr_private_segment_wavefront_offset 0
		.amdhsa_system_sgpr_workgroup_id_x 1
		.amdhsa_system_sgpr_workgroup_id_y 1
		.amdhsa_system_sgpr_workgroup_id_z 1
		.amdhsa_system_sgpr_workgroup_info 0
		.amdhsa_system_vgpr_workitem_id 0
		.amdhsa_next_free_vgpr 15
		.amdhsa_next_free_sgpr 36
		.amdhsa_accum_offset 16
		.amdhsa_reserve_vcc 1
		.amdhsa_reserve_flat_scratch 0
		.amdhsa_float_round_mode_32 0
		.amdhsa_float_round_mode_16_64 0
		.amdhsa_float_denorm_mode_32 3
		.amdhsa_float_denorm_mode_16_64 3
		.amdhsa_dx10_clamp 1
		.amdhsa_ieee_mode 1
		.amdhsa_fp16_overflow 0
		.amdhsa_tg_split 0
		.amdhsa_exception_fp_ieee_invalid_op 0
		.amdhsa_exception_fp_denorm_src 0
		.amdhsa_exception_fp_ieee_div_zero 0
		.amdhsa_exception_fp_ieee_overflow 0
		.amdhsa_exception_fp_ieee_underflow 0
		.amdhsa_exception_fp_ieee_inexact 0
		.amdhsa_exception_int_div_zero 0
	.end_amdhsa_kernel
	.section	.text._ZN2at6native12_GLOBAL__N_136reflection_pad2d_backward_out_kernelIfEEvPT_PKS3_lliiiiiii,"axG",@progbits,_ZN2at6native12_GLOBAL__N_136reflection_pad2d_backward_out_kernelIfEEvPT_PKS3_lliiiiiii,comdat
.Lfunc_end14:
	.size	_ZN2at6native12_GLOBAL__N_136reflection_pad2d_backward_out_kernelIfEEvPT_PKS3_lliiiiiii, .Lfunc_end14-_ZN2at6native12_GLOBAL__N_136reflection_pad2d_backward_out_kernelIfEEvPT_PKS3_lliiiiiii
                                        ; -- End function
	.section	.AMDGPU.csdata,"",@progbits
; Kernel info:
; codeLenInByte = 1572
; NumSgprs: 40
; NumVgprs: 15
; NumAgprs: 0
; TotalNumVgprs: 15
; ScratchSize: 0
; MemoryBound: 0
; FloatMode: 240
; IeeeMode: 1
; LDSByteSize: 0 bytes/workgroup (compile time only)
; SGPRBlocks: 4
; VGPRBlocks: 1
; NumSGPRsForWavesPerEU: 40
; NumVGPRsForWavesPerEU: 15
; AccumOffset: 16
; Occupancy: 8
; WaveLimiterHint : 0
; COMPUTE_PGM_RSRC2:SCRATCH_EN: 0
; COMPUTE_PGM_RSRC2:USER_SGPR: 6
; COMPUTE_PGM_RSRC2:TRAP_HANDLER: 0
; COMPUTE_PGM_RSRC2:TGID_X_EN: 1
; COMPUTE_PGM_RSRC2:TGID_Y_EN: 1
; COMPUTE_PGM_RSRC2:TGID_Z_EN: 1
; COMPUTE_PGM_RSRC2:TIDIG_COMP_CNT: 0
; COMPUTE_PGM_RSRC3_GFX90A:ACCUM_OFFSET: 3
; COMPUTE_PGM_RSRC3_GFX90A:TG_SPLIT: 0
	.section	.text._ZN2at6native12_GLOBAL__N_140reflection_pad2d_backward_det_out_kernelIN3c107complexIdEEEEvPT_PKS6_lliiiiiii,"axG",@progbits,_ZN2at6native12_GLOBAL__N_140reflection_pad2d_backward_det_out_kernelIN3c107complexIdEEEEvPT_PKS6_lliiiiiii,comdat
	.globl	_ZN2at6native12_GLOBAL__N_140reflection_pad2d_backward_det_out_kernelIN3c107complexIdEEEEvPT_PKS6_lliiiiiii ; -- Begin function _ZN2at6native12_GLOBAL__N_140reflection_pad2d_backward_det_out_kernelIN3c107complexIdEEEEvPT_PKS6_lliiiiiii
	.p2align	8
	.type	_ZN2at6native12_GLOBAL__N_140reflection_pad2d_backward_det_out_kernelIN3c107complexIdEEEEvPT_PKS6_lliiiiiii,@function
_ZN2at6native12_GLOBAL__N_140reflection_pad2d_backward_det_out_kernelIN3c107complexIdEEEEvPT_PKS6_lliiiiiii: ; @_ZN2at6native12_GLOBAL__N_140reflection_pad2d_backward_det_out_kernelIN3c107complexIdEEEEvPT_PKS6_lliiiiiii
; %bb.0:
	s_load_dword s2, s[4:5], 0x4c
	s_load_dwordx2 s[0:1], s[4:5], 0x30
	s_load_dwordx8 s[8:15], s[4:5], 0x0
	s_add_u32 s18, s4, 64
	s_addc_u32 s19, s5, 0
	s_waitcnt lgkmcnt(0)
	s_and_b32 s22, s2, 0xffff
	s_ashr_i32 s2, s0, 31
	s_mul_i32 s3, s14, s13
	s_mul_hi_u32 s16, s14, s12
	s_add_i32 s33, s16, s3
	s_mul_i32 s3, s15, s12
	s_mul_i32 s50, s14, s12
	s_add_i32 s33, s33, s3
	s_mul_i32 s2, s50, s2
	s_mul_hi_u32 s16, s50, s0
	s_ashr_i32 s7, s1, 31
	s_mul_i32 s3, s33, s0
	s_add_i32 s2, s16, s2
	s_mul_i32 s0, s50, s0
	s_add_i32 s2, s2, s3
	s_mul_i32 s3, s0, s7
	s_mul_hi_u32 s16, s0, s1
	s_mul_i32 s6, s6, s22
	v_mov_b32_e32 v2, 0
	s_mul_i32 s2, s2, s1
	s_add_i32 s3, s16, s3
	v_add_u32_e32 v0, s6, v0
	v_mov_b32_e32 v1, v2
	s_add_i32 s17, s3, s2
	s_mul_i32 s16, s0, s1
	s_mov_b32 s6, s1
	v_cmp_gt_i64_e32 vcc, s[16:17], v[0:1]
	s_and_saveexec_b64 s[0:1], vcc
	s_cbranch_execz .LBB15_53
; %bb.1:
	s_load_dwordx4 s[0:3], s[4:5], 0x20
	s_load_dword s24, s[18:19], 0x0
	v_sub_co_u32_e32 v4, vcc, 0, v0
	v_lshlrev_b64 v[6:7], 4, v[0:1]
	s_waitcnt lgkmcnt(0)
	s_ashr_i32 s5, s2, 31
	s_add_u32 s34, s2, s12
	s_addc_u32 s35, s5, s13
	s_ashr_i32 s31, s3, 31
	s_add_u32 s51, s34, s3
	s_addc_u32 s52, s35, s31
	s_ashr_i32 s19, s0, 31
	s_mov_b32 s30, s3
	s_add_u32 s3, s0, s14
	s_addc_u32 s20, s19, s15
	s_ashr_i32 s27, s1, 31
	s_mov_b32 s26, s1
	s_add_u32 s1, s3, s1
	s_addc_u32 s3, s20, s27
	s_mul_i32 s3, s51, s3
	s_mul_hi_u32 s20, s51, s1
	s_add_i32 s3, s20, s3
	s_mul_i32 s20, s52, s1
	s_add_i32 s21, s3, s20
	s_mul_i32 s20, s51, s1
	s_mul_i32 s1, s50, s7
	s_mul_hi_u32 s3, s50, s6
	s_add_i32 s1, s3, s1
	s_mul_i32 s3, s33, s6
	s_add_i32 s53, s1, s3
	s_mul_hi_u32 s23, s22, s24
	s_mul_i32 s22, s22, s24
	s_add_u32 s24, s14, -1
	s_addc_u32 s25, s15, -1
	s_not_b64 s[26:27], s[26:27]
	s_add_u32 s26, s26, s14
	s_addc_u32 s27, s27, s15
	s_add_u32 s28, s12, -1
	s_addc_u32 s29, s13, -1
	s_not_b64 s[30:31], s[30:31]
	s_add_u32 s30, s30, s12
	s_mul_i32 s1, s20, s7
	s_mul_hi_u32 s3, s20, s6
	s_addc_u32 s31, s31, s13
	s_add_i32 s1, s3, s1
	s_mul_i32 s3, s21, s6
	s_add_i32 s55, s1, s3
	s_add_u32 s1, s12, s34
	s_addc_u32 s3, s13, s35
	s_add_u32 s57, s1, -2
	s_addc_u32 s58, s3, -1
	s_lshl_b64 s[34:35], s[24:25], 1
	s_add_u32 s59, s34, s0
	s_mov_b32 s18, s0
	s_addc_u32 s60, s35, s19
	s_lshl_b64 s[0:1], s[28:29], 1
	s_add_u32 s61, s0, s2
	s_addc_u32 s62, s1, s5
	s_mov_b32 s4, s2
	s_sub_u32 s63, 0, s14
	v_subb_co_u32_e64 v5, s[0:1], 0, 0, vcc
	s_subb_u32 s64, 0, s15
	s_lshl_b64 s[36:37], s[6:7], 4
	s_lshl_b64 s[38:39], s[12:13], 4
	;; [unrolled: 1-line block ×3, first 2 shown]
	s_add_u32 s65, s10, s0
	s_addc_u32 s66, s11, s1
	s_lshl_b64 s[40:41], s[22:23], 4
	s_sub_u32 s67, 0, s50
	s_mul_i32 s54, s50, s6
	s_mul_i32 s56, s20, s6
	s_mov_b64 s[34:35], 0
	v_or_b32_e32 v6, 8, v6
	s_subb_u32 s68, 0, s33
	s_branch .LBB15_4
.LBB15_2:                               ;   in Loop: Header=BB15_4 Depth=1
	s_or_b64 exec, exec, s[0:1]
.LBB15_3:                               ;   in Loop: Header=BB15_4 Depth=1
	s_or_b64 exec, exec, s[42:43]
	v_lshlrev_b64 v[10:11], 4, v[12:13]
	v_mul_lo_u32 v12, s36, v9
	v_mul_lo_u32 v13, s37, v8
	v_mad_u64_u32 v[8:9], s[0:1], s36, v8, v[10:11]
	v_add3_u32 v9, v13, v9, v12
	v_mul_lo_u32 v12, s39, v3
	v_mul_lo_u32 v13, s38, v26
	v_mad_u64_u32 v[10:11], s[0:1], s38, v3, 0
	v_add3_u32 v11, v11, v13, v12
	v_mul_lo_u32 v3, s20, v9
	v_mad_u64_u32 v[10:11], s[0:1], s20, v8, v[10:11]
	v_mul_lo_u32 v8, s21, v8
	v_add3_u32 v3, v8, v11, v3
	v_lshlrev_b64 v[8:9], 4, v[22:23]
	v_add_co_u32_e32 v8, vcc, v10, v8
	v_addc_co_u32_e32 v3, vcc, v3, v9, vcc
	v_add_co_u32_e32 v8, vcc, v6, v8
	v_addc_co_u32_e32 v3, vcc, v7, v3, vcc
	v_mov_b32_e32 v9, s66
	v_add_co_u32_e32 v8, vcc, s65, v8
	v_addc_co_u32_e32 v9, vcc, v9, v3, vcc
	v_mov_b32_e32 v3, s9
	v_add_co_u32_e32 v12, vcc, s8, v6
	global_load_dwordx4 v[8:11], v[8:9], off offset:-8
	v_addc_co_u32_e32 v13, vcc, v3, v7, vcc
	global_load_dwordx4 v[18:21], v[12:13], off offset:-8
	v_mov_b32_e32 v3, s23
	v_add_co_u32_e32 v0, vcc, s22, v0
	v_addc_co_u32_e32 v1, vcc, v1, v3, vcc
	v_subrev_co_u32_e32 v4, vcc, s22, v4
	v_subb_co_u32_e32 v5, vcc, v5, v3, vcc
	v_cmp_le_i64_e32 vcc, s[16:17], v[0:1]
	v_mov_b32_e32 v22, s41
	s_or_b64 s[34:35], vcc, s[34:35]
	v_add_co_u32_e32 v6, vcc, s40, v6
	v_addc_co_u32_e32 v7, vcc, v7, v22, vcc
	s_waitcnt vmcnt(1)
	v_add_f64 v[8:9], v[16:17], v[8:9]
	v_add_f64 v[10:11], v[14:15], v[10:11]
	s_waitcnt vmcnt(0)
	v_add_f64 v[8:9], v[8:9], v[18:19]
	v_add_f64 v[10:11], v[10:11], v[20:21]
	global_store_dwordx4 v[12:13], v[8:11], off offset:-8
	s_andn2_b64 exec, exec, s[34:35]
	s_cbranch_execz .LBB15_53
.LBB15_4:                               ; =>This Inner Loop Header: Depth=1
	v_or_b32_e32 v3, s53, v1
	v_cmp_ne_u64_e32 vcc, 0, v[2:3]
	v_ashrrev_i32_e32 v12, 31, v1
                                        ; implicit-def: $vgpr8_vgpr9
	s_and_saveexec_b64 s[0:1], vcc
	s_xor_b64 s[2:3], exec, s[0:1]
	s_cbranch_execz .LBB15_6
; %bb.5:                                ;   in Loop: Header=BB15_4 Depth=1
	s_ashr_i32 s42, s53, 31
	s_add_u32 s0, s54, s42
	s_mov_b32 s43, s42
	s_addc_u32 s1, s53, s42
	s_xor_b64 s[44:45], s[0:1], s[42:43]
	v_cvt_f32_u32_e32 v3, s44
	v_cvt_f32_u32_e32 v8, s45
	s_sub_u32 s0, 0, s44
	s_subb_u32 s1, 0, s45
	v_mac_f32_e32 v3, 0x4f800000, v8
	v_rcp_f32_e32 v3, v3
	v_mul_f32_e32 v3, 0x5f7ffffc, v3
	v_mul_f32_e32 v8, 0x2f800000, v3
	v_trunc_f32_e32 v8, v8
	v_mac_f32_e32 v3, 0xcf800000, v8
	v_cvt_u32_f32_e32 v8, v8
	v_cvt_u32_f32_e32 v3, v3
	v_mul_lo_u32 v9, s0, v8
	v_mul_hi_u32 v11, s0, v3
	v_mul_lo_u32 v10, s1, v3
	v_add_u32_e32 v9, v11, v9
	v_mul_lo_u32 v13, s0, v3
	v_add_u32_e32 v9, v9, v10
	v_mul_lo_u32 v11, v3, v9
	v_mul_hi_u32 v14, v3, v13
	v_mul_hi_u32 v10, v3, v9
	v_add_co_u32_e32 v11, vcc, v14, v11
	v_addc_co_u32_e32 v10, vcc, 0, v10, vcc
	v_mul_hi_u32 v15, v8, v13
	v_mul_lo_u32 v13, v8, v13
	v_add_co_u32_e32 v11, vcc, v11, v13
	v_mul_hi_u32 v14, v8, v9
	v_addc_co_u32_e32 v10, vcc, v10, v15, vcc
	v_addc_co_u32_e32 v11, vcc, 0, v14, vcc
	v_mul_lo_u32 v9, v8, v9
	v_add_co_u32_e32 v9, vcc, v10, v9
	v_addc_co_u32_e32 v10, vcc, 0, v11, vcc
	v_add_co_u32_e32 v3, vcc, v3, v9
	v_addc_co_u32_e32 v8, vcc, v8, v10, vcc
	v_mul_lo_u32 v9, s0, v8
	v_mul_hi_u32 v10, s0, v3
	v_add_u32_e32 v9, v10, v9
	v_mul_lo_u32 v10, s1, v3
	v_add_u32_e32 v9, v9, v10
	v_mul_lo_u32 v11, s0, v3
	v_mul_hi_u32 v13, v8, v11
	v_mul_lo_u32 v14, v8, v11
	v_mul_lo_u32 v16, v3, v9
	v_mul_hi_u32 v11, v3, v11
	v_mul_hi_u32 v15, v3, v9
	v_add_co_u32_e32 v11, vcc, v11, v16
	v_addc_co_u32_e32 v15, vcc, 0, v15, vcc
	v_add_co_u32_e32 v11, vcc, v11, v14
	v_mul_hi_u32 v10, v8, v9
	v_addc_co_u32_e32 v11, vcc, v15, v13, vcc
	v_addc_co_u32_e32 v10, vcc, 0, v10, vcc
	v_mul_lo_u32 v9, v8, v9
	v_add_co_u32_e32 v9, vcc, v11, v9
	v_addc_co_u32_e32 v10, vcc, 0, v10, vcc
	v_add_co_u32_e32 v3, vcc, v3, v9
	v_addc_co_u32_e32 v10, vcc, v8, v10, vcc
	;; [unrolled: 2-line block ×3, first 2 shown]
	v_xor_b32_e32 v14, v8, v12
	v_xor_b32_e32 v13, v9, v12
	v_mad_u64_u32 v[8:9], s[0:1], v14, v10, 0
	v_mul_hi_u32 v11, v14, v3
	v_add_co_u32_e32 v15, vcc, v11, v8
	v_addc_co_u32_e32 v16, vcc, 0, v9, vcc
	v_mad_u64_u32 v[8:9], s[0:1], v13, v10, 0
	v_mad_u64_u32 v[10:11], s[0:1], v13, v3, 0
	v_add_co_u32_e32 v3, vcc, v15, v10
	v_addc_co_u32_e32 v3, vcc, v16, v11, vcc
	v_addc_co_u32_e32 v9, vcc, 0, v9, vcc
	v_add_co_u32_e32 v3, vcc, v3, v8
	v_addc_co_u32_e32 v10, vcc, 0, v9, vcc
	v_mul_lo_u32 v11, s45, v3
	v_mul_lo_u32 v15, s44, v10
	v_mad_u64_u32 v[8:9], s[0:1], s44, v3, 0
	v_add3_u32 v9, v9, v15, v11
	v_sub_u32_e32 v11, v13, v9
	v_mov_b32_e32 v15, s45
	v_sub_co_u32_e32 v8, vcc, v14, v8
	v_subb_co_u32_e64 v11, s[0:1], v11, v15, vcc
	v_subrev_co_u32_e64 v14, s[0:1], s44, v8
	v_subbrev_co_u32_e64 v11, s[0:1], 0, v11, s[0:1]
	v_cmp_le_u32_e64 s[0:1], s45, v11
	v_cndmask_b32_e64 v15, 0, -1, s[0:1]
	v_cmp_le_u32_e64 s[0:1], s44, v14
	v_cndmask_b32_e64 v14, 0, -1, s[0:1]
	v_cmp_eq_u32_e64 s[0:1], s45, v11
	v_cndmask_b32_e64 v11, v15, v14, s[0:1]
	v_add_co_u32_e64 v14, s[0:1], 2, v3
	v_subb_co_u32_e32 v9, vcc, v13, v9, vcc
	v_addc_co_u32_e64 v15, s[0:1], 0, v10, s[0:1]
	v_cmp_le_u32_e32 vcc, s45, v9
	v_add_co_u32_e64 v16, s[0:1], 1, v3
	v_cndmask_b32_e64 v13, 0, -1, vcc
	v_cmp_le_u32_e32 vcc, s44, v8
	v_addc_co_u32_e64 v17, s[0:1], 0, v10, s[0:1]
	v_cndmask_b32_e64 v8, 0, -1, vcc
	v_cmp_eq_u32_e32 vcc, s45, v9
	v_cmp_ne_u32_e64 s[0:1], 0, v11
	v_cndmask_b32_e32 v8, v13, v8, vcc
	v_cmp_ne_u32_e32 vcc, 0, v8
	v_cndmask_b32_e64 v9, v16, v14, s[0:1]
	v_cndmask_b32_e64 v11, v17, v15, s[0:1]
	v_cndmask_b32_e32 v3, v3, v9, vcc
	v_xor_b32_e32 v9, s42, v12
	v_cndmask_b32_e32 v8, v10, v11, vcc
	v_xor_b32_e32 v3, v3, v9
	v_xor_b32_e32 v10, v8, v9
	v_sub_co_u32_e32 v8, vcc, v3, v9
	v_subb_co_u32_e32 v9, vcc, v10, v9, vcc
.LBB15_6:                               ;   in Loop: Header=BB15_4 Depth=1
	s_andn2_saveexec_b64 s[0:1], s[2:3]
	s_cbranch_execz .LBB15_8
; %bb.7:                                ;   in Loop: Header=BB15_4 Depth=1
	v_cvt_f32_u32_e32 v3, s54
	s_sub_i32 s2, 0, s54
	v_rcp_iflag_f32_e32 v3, v3
	v_mul_f32_e32 v3, 0x4f7ffffe, v3
	v_cvt_u32_f32_e32 v3, v3
	v_mul_lo_u32 v8, s2, v3
	v_mul_hi_u32 v8, v3, v8
	v_add_u32_e32 v3, v3, v8
	v_mul_hi_u32 v3, v0, v3
	v_mul_lo_u32 v8, v3, s54
	v_sub_u32_e32 v8, v0, v8
	v_add_u32_e32 v9, 1, v3
	v_subrev_u32_e32 v10, s54, v8
	v_cmp_le_u32_e32 vcc, s54, v8
	v_cndmask_b32_e32 v8, v8, v10, vcc
	v_cndmask_b32_e32 v3, v3, v9, vcc
	v_add_u32_e32 v9, 1, v3
	v_cmp_le_u32_e32 vcc, s54, v8
	v_cndmask_b32_e32 v8, v3, v9, vcc
	v_mov_b32_e32 v9, v2
.LBB15_8:                               ;   in Loop: Header=BB15_4 Depth=1
	s_or_b64 exec, exec, s[0:1]
	v_or_b32_e32 v3, s33, v1
	v_cmp_ne_u64_e32 vcc, 0, v[2:3]
                                        ; implicit-def: $vgpr10_vgpr11
	s_and_saveexec_b64 s[0:1], vcc
	s_xor_b64 s[2:3], exec, s[0:1]
	s_cbranch_execz .LBB15_10
; %bb.9:                                ;   in Loop: Header=BB15_4 Depth=1
	s_ashr_i32 s42, s33, 31
	s_add_u32 s0, s50, s42
	s_mov_b32 s43, s42
	s_addc_u32 s1, s33, s42
	s_xor_b64 s[44:45], s[0:1], s[42:43]
	v_cvt_f32_u32_e32 v3, s44
	v_cvt_f32_u32_e32 v10, s45
	s_sub_u32 s0, 0, s44
	s_subb_u32 s1, 0, s45
	v_mac_f32_e32 v3, 0x4f800000, v10
	v_rcp_f32_e32 v3, v3
	v_mul_f32_e32 v3, 0x5f7ffffc, v3
	v_mul_f32_e32 v10, 0x2f800000, v3
	v_trunc_f32_e32 v10, v10
	v_mac_f32_e32 v3, 0xcf800000, v10
	v_cvt_u32_f32_e32 v10, v10
	v_cvt_u32_f32_e32 v3, v3
	v_mul_lo_u32 v11, s0, v10
	v_mul_hi_u32 v14, s0, v3
	v_mul_lo_u32 v13, s1, v3
	v_add_u32_e32 v11, v14, v11
	v_mul_lo_u32 v15, s0, v3
	v_add_u32_e32 v11, v11, v13
	v_mul_lo_u32 v14, v3, v11
	v_mul_hi_u32 v16, v3, v15
	v_mul_hi_u32 v13, v3, v11
	v_add_co_u32_e32 v14, vcc, v16, v14
	v_addc_co_u32_e32 v13, vcc, 0, v13, vcc
	v_mul_hi_u32 v17, v10, v15
	v_mul_lo_u32 v15, v10, v15
	v_add_co_u32_e32 v14, vcc, v14, v15
	v_mul_hi_u32 v16, v10, v11
	v_addc_co_u32_e32 v13, vcc, v13, v17, vcc
	v_addc_co_u32_e32 v14, vcc, 0, v16, vcc
	v_mul_lo_u32 v11, v10, v11
	v_add_co_u32_e32 v11, vcc, v13, v11
	v_addc_co_u32_e32 v13, vcc, 0, v14, vcc
	v_add_co_u32_e32 v3, vcc, v3, v11
	v_addc_co_u32_e32 v10, vcc, v10, v13, vcc
	v_mul_lo_u32 v11, s0, v10
	v_mul_hi_u32 v13, s0, v3
	v_add_u32_e32 v11, v13, v11
	v_mul_lo_u32 v13, s1, v3
	v_add_u32_e32 v11, v11, v13
	v_mul_lo_u32 v14, s0, v3
	v_mul_hi_u32 v15, v10, v14
	v_mul_lo_u32 v16, v10, v14
	v_mul_lo_u32 v18, v3, v11
	v_mul_hi_u32 v14, v3, v14
	v_mul_hi_u32 v17, v3, v11
	v_add_co_u32_e32 v14, vcc, v14, v18
	v_addc_co_u32_e32 v17, vcc, 0, v17, vcc
	v_add_co_u32_e32 v14, vcc, v14, v16
	v_mul_hi_u32 v13, v10, v11
	v_addc_co_u32_e32 v14, vcc, v17, v15, vcc
	v_addc_co_u32_e32 v13, vcc, 0, v13, vcc
	v_mul_lo_u32 v11, v10, v11
	v_add_co_u32_e32 v11, vcc, v14, v11
	v_addc_co_u32_e32 v13, vcc, 0, v13, vcc
	v_add_co_u32_e32 v3, vcc, v3, v11
	v_addc_co_u32_e32 v13, vcc, v10, v13, vcc
	;; [unrolled: 2-line block ×3, first 2 shown]
	v_xor_b32_e32 v17, v10, v12
	v_xor_b32_e32 v16, v11, v12
	v_mad_u64_u32 v[10:11], s[0:1], v17, v13, 0
	v_mul_hi_u32 v14, v17, v3
	v_add_co_u32_e32 v18, vcc, v14, v10
	v_addc_co_u32_e32 v19, vcc, 0, v11, vcc
	v_mad_u64_u32 v[14:15], s[0:1], v16, v3, 0
	v_add_co_u32_e32 v3, vcc, v18, v14
	v_mad_u64_u32 v[10:11], s[0:1], v16, v13, 0
	v_addc_co_u32_e32 v3, vcc, v19, v15, vcc
	v_addc_co_u32_e32 v11, vcc, 0, v11, vcc
	v_add_co_u32_e32 v3, vcc, v3, v10
	v_addc_co_u32_e32 v13, vcc, 0, v11, vcc
	v_mul_lo_u32 v14, s45, v3
	v_mul_lo_u32 v15, s44, v13
	v_mad_u64_u32 v[10:11], s[0:1], s44, v3, 0
	v_add3_u32 v11, v11, v15, v14
	v_sub_u32_e32 v14, v16, v11
	v_mov_b32_e32 v15, s45
	v_sub_co_u32_e32 v10, vcc, v17, v10
	v_subb_co_u32_e64 v14, s[0:1], v14, v15, vcc
	v_subrev_co_u32_e64 v15, s[0:1], s44, v10
	v_subbrev_co_u32_e64 v14, s[0:1], 0, v14, s[0:1]
	v_cmp_le_u32_e64 s[0:1], s45, v14
	v_cndmask_b32_e64 v17, 0, -1, s[0:1]
	v_cmp_le_u32_e64 s[0:1], s44, v15
	v_cndmask_b32_e64 v15, 0, -1, s[0:1]
	v_cmp_eq_u32_e64 s[0:1], s45, v14
	v_cndmask_b32_e64 v14, v17, v15, s[0:1]
	v_add_co_u32_e64 v15, s[0:1], 2, v3
	v_subb_co_u32_e32 v11, vcc, v16, v11, vcc
	v_addc_co_u32_e64 v17, s[0:1], 0, v13, s[0:1]
	v_cmp_le_u32_e32 vcc, s45, v11
	v_add_co_u32_e64 v18, s[0:1], 1, v3
	v_cndmask_b32_e64 v16, 0, -1, vcc
	v_cmp_le_u32_e32 vcc, s44, v10
	v_addc_co_u32_e64 v19, s[0:1], 0, v13, s[0:1]
	v_cndmask_b32_e64 v10, 0, -1, vcc
	v_cmp_eq_u32_e32 vcc, s45, v11
	v_cmp_ne_u32_e64 s[0:1], 0, v14
	v_cndmask_b32_e32 v10, v16, v10, vcc
	v_cmp_ne_u32_e32 vcc, 0, v10
	v_cndmask_b32_e64 v11, v18, v15, s[0:1]
	v_cndmask_b32_e64 v14, v19, v17, s[0:1]
	v_cndmask_b32_e32 v3, v3, v11, vcc
	v_xor_b32_e32 v11, s42, v12
	v_cndmask_b32_e32 v10, v13, v14, vcc
	v_xor_b32_e32 v3, v3, v11
	v_xor_b32_e32 v12, v10, v11
	v_sub_co_u32_e32 v10, vcc, v3, v11
	v_subb_co_u32_e32 v11, vcc, v12, v11, vcc
.LBB15_10:                              ;   in Loop: Header=BB15_4 Depth=1
	s_andn2_saveexec_b64 s[0:1], s[2:3]
	s_cbranch_execz .LBB15_12
; %bb.11:                               ;   in Loop: Header=BB15_4 Depth=1
	v_cvt_f32_u32_e32 v3, s50
	s_sub_i32 s2, 0, s50
	v_rcp_iflag_f32_e32 v3, v3
	v_mul_f32_e32 v3, 0x4f7ffffe, v3
	v_cvt_u32_f32_e32 v3, v3
	v_mul_lo_u32 v10, s2, v3
	v_mul_hi_u32 v10, v3, v10
	v_add_u32_e32 v3, v3, v10
	v_mul_hi_u32 v3, v0, v3
	v_mul_lo_u32 v10, v3, s50
	v_sub_u32_e32 v10, v0, v10
	v_add_u32_e32 v11, 1, v3
	v_subrev_u32_e32 v12, s50, v10
	v_cmp_le_u32_e32 vcc, s50, v10
	v_cndmask_b32_e32 v10, v10, v12, vcc
	v_cndmask_b32_e32 v3, v3, v11, vcc
	v_add_u32_e32 v11, 1, v3
	v_cmp_le_u32_e32 vcc, s50, v10
	v_cndmask_b32_e32 v10, v3, v11, vcc
	v_mov_b32_e32 v11, v2
.LBB15_12:                              ;   in Loop: Header=BB15_4 Depth=1
	s_or_b64 exec, exec, s[0:1]
	v_or_b32_e32 v3, s7, v11
	v_cmp_ne_u64_e32 vcc, 0, v[2:3]
                                        ; implicit-def: $vgpr12_vgpr13
	s_and_saveexec_b64 s[0:1], vcc
	s_xor_b64 s[42:43], exec, s[0:1]
	s_cbranch_execz .LBB15_14
; %bb.13:                               ;   in Loop: Header=BB15_4 Depth=1
	s_add_u32 s2, s6, s7
	s_mov_b32 s0, s7
	s_mov_b32 s1, s7
	s_addc_u32 s3, s7, s7
	s_xor_b64 s[44:45], s[2:3], s[0:1]
	v_cvt_f32_u32_e32 v3, s44
	v_cvt_f32_u32_e32 v12, s45
	s_sub_u32 s0, 0, s44
	s_subb_u32 s1, 0, s45
	v_mac_f32_e32 v3, 0x4f800000, v12
	v_rcp_f32_e32 v3, v3
	v_mul_f32_e32 v3, 0x5f7ffffc, v3
	v_mul_f32_e32 v12, 0x2f800000, v3
	v_trunc_f32_e32 v12, v12
	v_mac_f32_e32 v3, 0xcf800000, v12
	v_cvt_u32_f32_e32 v12, v12
	v_cvt_u32_f32_e32 v3, v3
	v_mul_lo_u32 v13, s0, v12
	v_mul_hi_u32 v15, s0, v3
	v_mul_lo_u32 v14, s1, v3
	v_add_u32_e32 v13, v15, v13
	v_mul_lo_u32 v16, s0, v3
	v_add_u32_e32 v13, v13, v14
	v_mul_lo_u32 v15, v3, v13
	v_mul_hi_u32 v17, v3, v16
	v_mul_hi_u32 v14, v3, v13
	v_add_co_u32_e32 v15, vcc, v17, v15
	v_addc_co_u32_e32 v14, vcc, 0, v14, vcc
	v_mul_hi_u32 v18, v12, v16
	v_mul_lo_u32 v16, v12, v16
	v_add_co_u32_e32 v15, vcc, v15, v16
	v_mul_hi_u32 v17, v12, v13
	v_addc_co_u32_e32 v14, vcc, v14, v18, vcc
	v_addc_co_u32_e32 v15, vcc, 0, v17, vcc
	v_mul_lo_u32 v13, v12, v13
	v_add_co_u32_e32 v13, vcc, v14, v13
	v_addc_co_u32_e32 v14, vcc, 0, v15, vcc
	v_add_co_u32_e32 v3, vcc, v3, v13
	v_addc_co_u32_e32 v12, vcc, v12, v14, vcc
	v_mul_lo_u32 v13, s0, v12
	v_mul_hi_u32 v14, s0, v3
	v_add_u32_e32 v13, v14, v13
	v_mul_lo_u32 v14, s1, v3
	v_add_u32_e32 v13, v13, v14
	v_mul_lo_u32 v15, s0, v3
	v_mul_hi_u32 v16, v12, v15
	v_mul_lo_u32 v17, v12, v15
	v_mul_lo_u32 v19, v3, v13
	v_mul_hi_u32 v15, v3, v15
	v_mul_hi_u32 v18, v3, v13
	v_add_co_u32_e32 v15, vcc, v15, v19
	v_addc_co_u32_e32 v18, vcc, 0, v18, vcc
	v_add_co_u32_e32 v15, vcc, v15, v17
	v_mul_hi_u32 v14, v12, v13
	v_addc_co_u32_e32 v15, vcc, v18, v16, vcc
	v_addc_co_u32_e32 v14, vcc, 0, v14, vcc
	v_mul_lo_u32 v13, v12, v13
	v_add_co_u32_e32 v13, vcc, v15, v13
	v_addc_co_u32_e32 v14, vcc, 0, v14, vcc
	v_add_co_u32_e32 v3, vcc, v3, v13
	v_addc_co_u32_e32 v14, vcc, v12, v14, vcc
	v_ashrrev_i32_e32 v16, 31, v11
	v_add_co_u32_e32 v12, vcc, v10, v16
	v_addc_co_u32_e32 v13, vcc, v11, v16, vcc
	v_xor_b32_e32 v18, v12, v16
	v_xor_b32_e32 v17, v13, v16
	v_mad_u64_u32 v[12:13], s[0:1], v18, v14, 0
	v_mul_hi_u32 v15, v18, v3
	v_add_co_u32_e32 v19, vcc, v15, v12
	v_addc_co_u32_e32 v20, vcc, 0, v13, vcc
	v_mad_u64_u32 v[12:13], s[0:1], v17, v14, 0
	v_mad_u64_u32 v[14:15], s[0:1], v17, v3, 0
	v_add_co_u32_e32 v3, vcc, v19, v14
	v_addc_co_u32_e32 v3, vcc, v20, v15, vcc
	v_addc_co_u32_e32 v13, vcc, 0, v13, vcc
	v_add_co_u32_e32 v3, vcc, v3, v12
	v_addc_co_u32_e32 v12, vcc, 0, v13, vcc
	v_mul_lo_u32 v14, s45, v3
	v_mul_lo_u32 v15, s44, v12
	v_mad_u64_u32 v[12:13], s[0:1], s44, v3, 0
	v_add3_u32 v3, v13, v15, v14
	v_sub_u32_e32 v13, v17, v3
	v_mov_b32_e32 v14, s45
	v_sub_co_u32_e32 v12, vcc, v18, v12
	v_subb_co_u32_e64 v13, s[0:1], v13, v14, vcc
	v_subrev_co_u32_e64 v15, s[0:1], s44, v12
	v_subbrev_co_u32_e64 v18, s[2:3], 0, v13, s[0:1]
	v_cmp_le_u32_e64 s[2:3], s45, v18
	v_cndmask_b32_e64 v19, 0, -1, s[2:3]
	v_cmp_le_u32_e64 s[2:3], s44, v15
	v_subb_co_u32_e64 v13, s[0:1], v13, v14, s[0:1]
	v_cndmask_b32_e64 v20, 0, -1, s[2:3]
	v_cmp_eq_u32_e64 s[2:3], s45, v18
	v_subrev_co_u32_e64 v14, s[0:1], s44, v15
	v_subb_co_u32_e32 v3, vcc, v17, v3, vcc
	v_cndmask_b32_e64 v19, v19, v20, s[2:3]
	v_subbrev_co_u32_e64 v13, s[0:1], 0, v13, s[0:1]
	v_cmp_le_u32_e32 vcc, s45, v3
	v_cmp_ne_u32_e64 s[0:1], 0, v19
	v_cndmask_b32_e64 v17, 0, -1, vcc
	v_cmp_le_u32_e32 vcc, s44, v12
	v_cndmask_b32_e64 v13, v18, v13, s[0:1]
	v_cndmask_b32_e64 v18, 0, -1, vcc
	v_cmp_eq_u32_e32 vcc, s45, v3
	v_cndmask_b32_e32 v17, v17, v18, vcc
	v_cmp_ne_u32_e32 vcc, 0, v17
	v_cndmask_b32_e32 v3, v3, v13, vcc
	v_cndmask_b32_e64 v13, v15, v14, s[0:1]
	v_cndmask_b32_e32 v12, v12, v13, vcc
	v_xor_b32_e32 v12, v12, v16
	v_xor_b32_e32 v3, v3, v16
	v_sub_co_u32_e32 v12, vcc, v12, v16
	v_subb_co_u32_e32 v13, vcc, v3, v16, vcc
.LBB15_14:                              ;   in Loop: Header=BB15_4 Depth=1
	s_andn2_saveexec_b64 s[0:1], s[42:43]
	s_cbranch_execz .LBB15_16
; %bb.15:                               ;   in Loop: Header=BB15_4 Depth=1
	v_cvt_f32_u32_e32 v3, s6
	s_sub_i32 s2, 0, s6
	v_mov_b32_e32 v13, v2
	v_rcp_iflag_f32_e32 v3, v3
	v_mul_f32_e32 v3, 0x4f7ffffe, v3
	v_cvt_u32_f32_e32 v3, v3
	v_mul_lo_u32 v12, s2, v3
	v_mul_hi_u32 v12, v3, v12
	v_add_u32_e32 v3, v3, v12
	v_mul_hi_u32 v3, v10, v3
	v_mul_lo_u32 v3, v3, s6
	v_sub_u32_e32 v3, v10, v3
	v_subrev_u32_e32 v12, s6, v3
	v_cmp_le_u32_e32 vcc, s6, v3
	v_cndmask_b32_e32 v3, v3, v12, vcc
	v_subrev_u32_e32 v12, s6, v3
	v_cmp_le_u32_e32 vcc, s6, v3
	v_cndmask_b32_e32 v12, v3, v12, vcc
.LBB15_16:                              ;   in Loop: Header=BB15_4 Depth=1
	s_or_b64 exec, exec, s[0:1]
	v_mad_u64_u32 v[14:15], s[0:1], s67, v10, v[0:1]
	v_mul_lo_u32 v3, s67, v11
	v_mul_lo_u32 v16, s68, v10
	v_add3_u32 v15, v16, v15, v3
	v_or_b32_e32 v3, s13, v15
	v_cmp_ne_u64_e32 vcc, 0, v[2:3]
                                        ; implicit-def: $vgpr18_vgpr19
	s_and_saveexec_b64 s[0:1], vcc
	s_xor_b64 s[2:3], exec, s[0:1]
	s_cbranch_execz .LBB15_18
; %bb.17:                               ;   in Loop: Header=BB15_4 Depth=1
	s_ashr_i32 s42, s13, 31
	s_add_u32 s0, s12, s42
	s_mov_b32 s43, s42
	s_addc_u32 s1, s13, s42
	s_xor_b64 s[44:45], s[0:1], s[42:43]
	v_cvt_f32_u32_e32 v3, s44
	v_cvt_f32_u32_e32 v16, s45
	s_sub_u32 s0, 0, s44
	s_subb_u32 s1, 0, s45
	v_mac_f32_e32 v3, 0x4f800000, v16
	v_rcp_f32_e32 v3, v3
	v_mul_f32_e32 v3, 0x5f7ffffc, v3
	v_mul_f32_e32 v16, 0x2f800000, v3
	v_trunc_f32_e32 v16, v16
	v_mac_f32_e32 v3, 0xcf800000, v16
	v_cvt_u32_f32_e32 v16, v16
	v_cvt_u32_f32_e32 v3, v3
	v_mul_lo_u32 v17, s0, v16
	v_mul_hi_u32 v19, s0, v3
	v_mul_lo_u32 v18, s1, v3
	v_add_u32_e32 v17, v19, v17
	v_mul_lo_u32 v20, s0, v3
	v_add_u32_e32 v17, v17, v18
	v_mul_lo_u32 v19, v3, v17
	v_mul_hi_u32 v21, v3, v20
	v_mul_hi_u32 v18, v3, v17
	v_add_co_u32_e32 v19, vcc, v21, v19
	v_addc_co_u32_e32 v18, vcc, 0, v18, vcc
	v_mul_hi_u32 v22, v16, v20
	v_mul_lo_u32 v20, v16, v20
	v_add_co_u32_e32 v19, vcc, v19, v20
	v_mul_hi_u32 v21, v16, v17
	v_addc_co_u32_e32 v18, vcc, v18, v22, vcc
	v_addc_co_u32_e32 v19, vcc, 0, v21, vcc
	v_mul_lo_u32 v17, v16, v17
	v_add_co_u32_e32 v17, vcc, v18, v17
	v_addc_co_u32_e32 v18, vcc, 0, v19, vcc
	v_add_co_u32_e32 v3, vcc, v3, v17
	v_addc_co_u32_e32 v16, vcc, v16, v18, vcc
	v_mul_lo_u32 v17, s0, v16
	v_mul_hi_u32 v18, s0, v3
	v_add_u32_e32 v17, v18, v17
	v_mul_lo_u32 v18, s1, v3
	v_add_u32_e32 v17, v17, v18
	v_mul_lo_u32 v19, s0, v3
	v_mul_hi_u32 v20, v16, v19
	v_mul_lo_u32 v21, v16, v19
	v_mul_lo_u32 v23, v3, v17
	v_mul_hi_u32 v19, v3, v19
	v_mul_hi_u32 v22, v3, v17
	v_add_co_u32_e32 v19, vcc, v19, v23
	v_addc_co_u32_e32 v22, vcc, 0, v22, vcc
	v_add_co_u32_e32 v19, vcc, v19, v21
	v_mul_hi_u32 v18, v16, v17
	v_addc_co_u32_e32 v19, vcc, v22, v20, vcc
	v_addc_co_u32_e32 v18, vcc, 0, v18, vcc
	v_mul_lo_u32 v17, v16, v17
	v_add_co_u32_e32 v17, vcc, v19, v17
	v_addc_co_u32_e32 v18, vcc, 0, v18, vcc
	v_add_co_u32_e32 v3, vcc, v3, v17
	v_addc_co_u32_e32 v16, vcc, v16, v18, vcc
	v_ashrrev_i32_e32 v18, 31, v15
	v_add_co_u32_e32 v14, vcc, v14, v18
	v_addc_co_u32_e32 v15, vcc, v15, v18, vcc
	v_xor_b32_e32 v20, v14, v18
	v_xor_b32_e32 v19, v15, v18
	v_mad_u64_u32 v[14:15], s[0:1], v20, v16, 0
	v_mul_hi_u32 v17, v20, v3
	v_add_co_u32_e32 v21, vcc, v17, v14
	v_addc_co_u32_e32 v22, vcc, 0, v15, vcc
	v_mad_u64_u32 v[14:15], s[0:1], v19, v16, 0
	v_mad_u64_u32 v[16:17], s[0:1], v19, v3, 0
	v_add_co_u32_e32 v3, vcc, v21, v16
	v_addc_co_u32_e32 v3, vcc, v22, v17, vcc
	v_addc_co_u32_e32 v15, vcc, 0, v15, vcc
	v_add_co_u32_e32 v3, vcc, v3, v14
	v_addc_co_u32_e32 v16, vcc, 0, v15, vcc
	v_mul_lo_u32 v17, s45, v3
	v_mul_lo_u32 v21, s44, v16
	v_mad_u64_u32 v[14:15], s[0:1], s44, v3, 0
	v_add3_u32 v15, v15, v21, v17
	v_sub_u32_e32 v17, v19, v15
	v_mov_b32_e32 v21, s45
	v_sub_co_u32_e32 v14, vcc, v20, v14
	v_subb_co_u32_e64 v17, s[0:1], v17, v21, vcc
	v_subrev_co_u32_e64 v20, s[0:1], s44, v14
	v_subbrev_co_u32_e64 v17, s[0:1], 0, v17, s[0:1]
	v_cmp_le_u32_e64 s[0:1], s45, v17
	v_cndmask_b32_e64 v21, 0, -1, s[0:1]
	v_cmp_le_u32_e64 s[0:1], s44, v20
	v_cndmask_b32_e64 v20, 0, -1, s[0:1]
	v_cmp_eq_u32_e64 s[0:1], s45, v17
	v_cndmask_b32_e64 v17, v21, v20, s[0:1]
	v_add_co_u32_e64 v20, s[0:1], 2, v3
	v_subb_co_u32_e32 v15, vcc, v19, v15, vcc
	v_addc_co_u32_e64 v21, s[0:1], 0, v16, s[0:1]
	v_cmp_le_u32_e32 vcc, s45, v15
	v_add_co_u32_e64 v22, s[0:1], 1, v3
	v_cndmask_b32_e64 v19, 0, -1, vcc
	v_cmp_le_u32_e32 vcc, s44, v14
	v_addc_co_u32_e64 v23, s[0:1], 0, v16, s[0:1]
	v_cndmask_b32_e64 v14, 0, -1, vcc
	v_cmp_eq_u32_e32 vcc, s45, v15
	v_cmp_ne_u32_e64 s[0:1], 0, v17
	v_cndmask_b32_e32 v14, v19, v14, vcc
	v_cmp_ne_u32_e32 vcc, 0, v14
	v_cndmask_b32_e64 v15, v22, v20, s[0:1]
	v_cndmask_b32_e64 v17, v23, v21, s[0:1]
	v_cndmask_b32_e32 v3, v3, v15, vcc
	v_xor_b32_e32 v15, s42, v18
	v_cndmask_b32_e32 v14, v16, v17, vcc
	v_xor_b32_e32 v3, v3, v15
	v_xor_b32_e32 v14, v14, v15
	v_sub_co_u32_e32 v18, vcc, v3, v15
	v_subb_co_u32_e32 v19, vcc, v14, v15, vcc
                                        ; implicit-def: $vgpr14_vgpr15
.LBB15_18:                              ;   in Loop: Header=BB15_4 Depth=1
	s_andn2_saveexec_b64 s[0:1], s[2:3]
	s_cbranch_execz .LBB15_20
; %bb.19:                               ;   in Loop: Header=BB15_4 Depth=1
	v_cvt_f32_u32_e32 v3, s12
	s_sub_i32 s2, 0, s12
	v_mov_b32_e32 v19, v2
	v_rcp_iflag_f32_e32 v3, v3
	v_mul_f32_e32 v3, 0x4f7ffffe, v3
	v_cvt_u32_f32_e32 v3, v3
	v_mul_lo_u32 v15, s2, v3
	v_mul_hi_u32 v15, v3, v15
	v_add_u32_e32 v3, v3, v15
	v_mul_hi_u32 v3, v14, v3
	v_mul_lo_u32 v15, v3, s12
	v_sub_u32_e32 v14, v14, v15
	v_add_u32_e32 v16, 1, v3
	v_subrev_u32_e32 v15, s12, v14
	v_cmp_le_u32_e32 vcc, s12, v14
	v_cndmask_b32_e32 v14, v14, v15, vcc
	v_cndmask_b32_e32 v3, v3, v16, vcc
	v_add_u32_e32 v15, 1, v3
	v_cmp_le_u32_e32 vcc, s12, v14
	v_cndmask_b32_e32 v18, v3, v15, vcc
.LBB15_20:                              ;   in Loop: Header=BB15_4 Depth=1
	s_or_b64 exec, exec, s[0:1]
	v_mul_lo_u32 v3, v11, s50
	v_mul_lo_u32 v16, v10, s33
	v_mad_u64_u32 v[14:15], s[0:1], v10, s50, 0
	v_add3_u32 v3, v15, v16, v3
	v_sub_co_u32_e32 v16, vcc, v0, v14
	v_subb_co_u32_e32 v3, vcc, v1, v3, vcc
	v_mul_lo_u32 v17, v19, s12
	v_mul_lo_u32 v20, v18, s13
	v_mad_u64_u32 v[14:15], s[0:1], v18, s12, 0
	v_add3_u32 v15, v15, v20, v17
	v_sub_co_u32_e32 v27, vcc, v16, v14
	v_subb_co_u32_e32 v28, vcc, v3, v15, vcc
	;; [unrolled: 6-line block ×3, first 2 shown]
	v_mul_lo_u32 v16, s13, v3
	v_mul_lo_u32 v17, s12, v26
	v_mad_u64_u32 v[20:21], s[0:1], s12, v3, 0
	v_mad_u64_u32 v[14:15], s[0:1], s12, v3, v[0:1]
	v_add3_u32 v21, v21, v17, v16
	v_add3_u32 v15, v16, v15, v17
	v_cmp_lt_i64_e32 vcc, 0, v[18:19]
	v_cmp_ge_i64_e64 s[0:1], s[18:19], v[18:19]
	s_and_b64 s[46:47], vcc, s[0:1]
	v_cmp_eq_u64_e32 vcc, v[20:21], v[4:5]
	v_cmp_lt_i64_e64 s[0:1], s[4:5], v[14:15]
	s_or_b64 s[42:43], vcc, s[0:1]
	v_cmp_gt_i64_e32 vcc, s[28:29], v[14:15]
	v_cmp_le_i64_e64 s[0:1], s[30:31], v[14:15]
	v_pk_mov_b32 v[14:15], 0, 0
	s_and_b64 s[2:3], vcc, s[0:1]
	v_pk_mov_b32 v[16:17], v[14:15], v[14:15] op_sel:[0,1]
	s_and_saveexec_b64 s[44:45], s[46:47]
	s_cbranch_execz .LBB15_30
; %bb.21:                               ;   in Loop: Header=BB15_4 Depth=1
	v_mov_b32_e32 v14, s19
	v_sub_co_u32_e32 v24, vcc, s18, v18
	v_subb_co_u32_e32 v14, vcc, v14, v19, vcc
	v_mov_b32_e32 v16, s5
	v_add_co_u32_e32 v17, vcc, s4, v0
	v_mul_lo_u32 v29, v14, s51
	v_mul_lo_u32 v30, v24, s52
	v_mad_u64_u32 v[14:15], s[0:1], v24, s51, v[20:21]
	v_addc_co_u32_e32 v16, vcc, v16, v1, vcc
	v_add3_u32 v15, v29, v15, v30
	v_add_co_u32_e32 v22, vcc, v17, v14
	v_addc_co_u32_e32 v23, vcc, v16, v15, vcc
	v_pk_mov_b32 v[16:17], 0, 0
	v_cmp_gt_i64_e32 vcc, s[20:21], v[22:23]
	s_mov_b64 s[46:47], 0
	v_pk_mov_b32 v[14:15], v[16:17], v[16:17] op_sel:[0,1]
	s_and_saveexec_b64 s[0:1], vcc
	s_cbranch_execz .LBB15_23
; %bb.22:                               ;   in Loop: Header=BB15_4 Depth=1
	v_mul_lo_u32 v16, s55, v8
	v_mul_lo_u32 v17, s56, v9
	v_mad_u64_u32 v[14:15], s[48:49], s56, v8, 0
	v_add3_u32 v15, v15, v17, v16
	v_mul_lo_u32 v25, v13, s20
	v_mul_lo_u32 v31, v12, s21
	v_mad_u64_u32 v[16:17], s[48:49], v12, s20, 0
	v_lshlrev_b64 v[14:15], 4, v[14:15]
	v_add3_u32 v17, v17, v31, v25
	v_mov_b32_e32 v25, s11
	v_add_co_u32_e32 v31, vcc, s10, v14
	v_addc_co_u32_e32 v25, vcc, v25, v15, vcc
	v_lshlrev_b64 v[14:15], 4, v[16:17]
	v_add_co_u32_e32 v16, vcc, v31, v14
	v_addc_co_u32_e32 v17, vcc, v25, v15, vcc
	v_lshlrev_b64 v[14:15], 4, v[22:23]
	v_add_co_u32_e32 v14, vcc, v16, v14
	v_addc_co_u32_e32 v15, vcc, v17, v15, vcc
	global_load_dwordx4 v[32:35], v[14:15], off
	s_waitcnt vmcnt(0)
	v_add_f64 v[16:17], v[32:33], 0
	v_add_f64 v[14:15], v[34:35], 0
.LBB15_23:                              ;   in Loop: Header=BB15_4 Depth=1
	s_or_b64 exec, exec, s[0:1]
	v_mad_u64_u32 v[24:25], s[0:1], v24, s51, 0
	v_add3_u32 v25, v25, v30, v29
                                        ; implicit-def: $vgpr22_vgpr23
	s_and_saveexec_b64 s[0:1], s[42:43]
	s_xor_b64 s[48:49], exec, s[0:1]
	s_cbranch_execz .LBB15_49
; %bb.24:                               ;   in Loop: Header=BB15_4 Depth=1
	s_mov_b64 s[0:1], 0
                                        ; implicit-def: $vgpr22_vgpr23
	s_and_saveexec_b64 s[46:47], s[2:3]
	s_xor_b64 s[46:47], exec, s[46:47]
	s_cbranch_execz .LBB15_26
; %bb.25:                               ;   in Loop: Header=BB15_4 Depth=1
	v_mov_b32_e32 v22, s58
	v_sub_co_u32_e32 v23, vcc, s57, v27
	v_subb_co_u32_e32 v29, vcc, v22, v28, vcc
	v_add_co_u32_e32 v22, vcc, v23, v24
	v_addc_co_u32_e32 v23, vcc, v29, v25, vcc
	v_mad_u64_u32 v[30:31], s[0:1], s14, v10, v[18:19]
	v_mul_lo_u32 v29, s14, v11
	v_mul_lo_u32 v32, s15, v10
	v_add3_u32 v29, v32, v31, v29
	v_add_co_u32_e32 v30, vcc, 2, v30
	v_addc_co_u32_e32 v29, vcc, 0, v29, vcc
	v_mul_lo_u32 v29, s12, v29
	v_mul_lo_u32 v31, s13, v30
	v_mad_u64_u32 v[24:25], s[0:1], s12, v30, v[24:25]
	v_add3_u32 v25, v31, v25, v29
	v_mov_b32_e32 v29, s5
	v_add_co_u32_e32 v30, vcc, s4, v4
	v_addc_co_u32_e32 v29, vcc, v29, v5, vcc
	v_add_co_u32_e32 v24, vcc, v30, v24
	v_addc_co_u32_e32 v25, vcc, v29, v25, vcc
	v_add_co_u32_e32 v24, vcc, -2, v24
	v_addc_co_u32_e32 v25, vcc, -1, v25, vcc
	v_cmp_lt_i64_e32 vcc, -1, v[24:25]
	v_cmp_gt_i64_e64 s[0:1], s[20:21], v[24:25]
	s_and_b64 s[0:1], vcc, s[0:1]
	s_and_b64 s[0:1], s[0:1], exec
.LBB15_26:                              ;   in Loop: Header=BB15_4 Depth=1
	s_or_b64 exec, exec, s[46:47]
	s_and_b64 s[46:47], s[0:1], exec
                                        ; implicit-def: $vgpr24_vgpr25
	s_andn2_saveexec_b64 s[48:49], s[48:49]
	s_cbranch_execnz .LBB15_50
.LBB15_27:                              ;   in Loop: Header=BB15_4 Depth=1
	s_or_b64 exec, exec, s[48:49]
	s_and_saveexec_b64 s[0:1], s[46:47]
	s_cbranch_execz .LBB15_29
.LBB15_28:                              ;   in Loop: Header=BB15_4 Depth=1
	v_mul_lo_u32 v29, s55, v8
	v_mul_lo_u32 v30, s56, v9
	v_mad_u64_u32 v[24:25], s[46:47], s56, v8, 0
	v_add3_u32 v25, v25, v30, v29
	v_mul_lo_u32 v29, v13, s20
	v_mul_lo_u32 v32, v12, s21
	v_mad_u64_u32 v[30:31], s[46:47], v12, s20, 0
	v_lshlrev_b64 v[24:25], 4, v[24:25]
	v_add3_u32 v31, v31, v32, v29
	v_mov_b32_e32 v29, s11
	v_add_co_u32_e32 v32, vcc, s10, v24
	v_addc_co_u32_e32 v29, vcc, v29, v25, vcc
	v_lshlrev_b64 v[24:25], 4, v[30:31]
	v_add_co_u32_e32 v24, vcc, v32, v24
	v_addc_co_u32_e32 v25, vcc, v29, v25, vcc
	v_lshlrev_b64 v[22:23], 4, v[22:23]
	v_add_co_u32_e32 v22, vcc, v24, v22
	v_addc_co_u32_e32 v23, vcc, v25, v23, vcc
	global_load_dwordx4 v[22:25], v[22:23], off
	s_waitcnt vmcnt(0)
	v_add_f64 v[16:17], v[16:17], v[22:23]
	v_add_f64 v[14:15], v[14:15], v[24:25]
.LBB15_29:                              ;   in Loop: Header=BB15_4 Depth=1
	s_or_b64 exec, exec, s[0:1]
.LBB15_30:                              ;   in Loop: Header=BB15_4 Depth=1
	s_or_b64 exec, exec, s[44:45]
	v_cmp_gt_i64_e32 vcc, s[24:25], v[18:19]
	v_cmp_le_i64_e64 s[0:1], s[26:27], v[18:19]
	s_and_b64 s[0:1], vcc, s[0:1]
	s_and_saveexec_b64 s[44:45], s[0:1]
	s_cbranch_execz .LBB15_40
; %bb.31:                               ;   in Loop: Header=BB15_4 Depth=1
	v_mov_b32_e32 v22, s60
	v_sub_co_u32_e32 v24, vcc, s59, v18
	v_subb_co_u32_e32 v22, vcc, v22, v19, vcc
	v_mov_b32_e32 v25, s5
	v_add_co_u32_e32 v31, vcc, s4, v0
	v_mul_lo_u32 v29, s52, v24
	v_mul_lo_u32 v30, s51, v22
	v_mad_u64_u32 v[22:23], s[0:1], s51, v24, v[20:21]
	v_addc_co_u32_e32 v25, vcc, v25, v1, vcc
	v_add3_u32 v23, v29, v23, v30
	v_add_co_u32_e32 v22, vcc, v31, v22
	v_addc_co_u32_e32 v23, vcc, v25, v23, vcc
	v_cmp_lt_i64_e32 vcc, -1, v[22:23]
	v_cmp_gt_i64_e64 s[0:1], s[20:21], v[22:23]
	s_and_b64 s[46:47], vcc, s[0:1]
	s_and_saveexec_b64 s[0:1], s[46:47]
	s_cbranch_execz .LBB15_33
; %bb.32:                               ;   in Loop: Header=BB15_4 Depth=1
	v_mul_lo_u32 v25, s55, v8
	v_mul_lo_u32 v31, s56, v9
	v_mad_u64_u32 v[32:33], s[46:47], s56, v8, 0
	v_add3_u32 v33, v33, v31, v25
	v_mul_lo_u32 v25, v13, s20
	v_mul_lo_u32 v31, v12, s21
	v_mad_u64_u32 v[34:35], s[46:47], v12, s20, 0
	v_lshlrev_b64 v[32:33], 4, v[32:33]
	v_add3_u32 v35, v35, v31, v25
	v_mov_b32_e32 v25, s11
	v_add_co_u32_e32 v31, vcc, s10, v32
	v_addc_co_u32_e32 v25, vcc, v25, v33, vcc
	v_lshlrev_b64 v[32:33], 4, v[34:35]
	v_add_co_u32_e32 v31, vcc, v31, v32
	v_addc_co_u32_e32 v25, vcc, v25, v33, vcc
	v_lshlrev_b64 v[22:23], 4, v[22:23]
	v_add_co_u32_e32 v22, vcc, v31, v22
	v_addc_co_u32_e32 v23, vcc, v25, v23, vcc
	global_load_dwordx4 v[32:35], v[22:23], off
	s_waitcnt vmcnt(0)
	v_add_f64 v[16:17], v[16:17], v[32:33]
	v_add_f64 v[14:15], v[14:15], v[34:35]
.LBB15_33:                              ;   in Loop: Header=BB15_4 Depth=1
	s_or_b64 exec, exec, s[0:1]
	v_mad_u64_u32 v[24:25], s[0:1], s51, v24, 0
	v_add3_u32 v25, v25, v30, v29
	s_mov_b64 s[48:49], 0
                                        ; implicit-def: $vgpr22_vgpr23
	s_and_saveexec_b64 s[0:1], s[42:43]
	s_xor_b64 s[46:47], exec, s[0:1]
	s_cbranch_execz .LBB15_51
; %bb.34:                               ;   in Loop: Header=BB15_4 Depth=1
	s_mov_b64 s[0:1], 0
                                        ; implicit-def: $vgpr22_vgpr23
	s_and_saveexec_b64 s[48:49], s[2:3]
	s_xor_b64 s[48:49], exec, s[48:49]
	s_cbranch_execz .LBB15_36
; %bb.35:                               ;   in Loop: Header=BB15_4 Depth=1
	v_mov_b32_e32 v22, s62
	v_add_co_u32_e32 v23, vcc, s61, v24
	v_addc_co_u32_e32 v29, vcc, v22, v25, vcc
	v_sub_co_u32_e32 v22, vcc, v23, v27
	v_subb_co_u32_e32 v23, vcc, v29, v28, vcc
	v_mad_u64_u32 v[28:29], s[0:1], s14, v10, v[18:19]
	v_mul_lo_u32 v27, s14, v11
	v_mul_lo_u32 v30, s15, v10
	v_add3_u32 v27, v30, v29, v27
	v_add_co_u32_e32 v28, vcc, 2, v28
	v_addc_co_u32_e32 v27, vcc, 0, v27, vcc
	v_mul_lo_u32 v27, s12, v27
	v_mul_lo_u32 v29, s13, v28
	v_mad_u64_u32 v[24:25], s[0:1], s12, v28, v[24:25]
	v_add3_u32 v25, v29, v25, v27
	v_mov_b32_e32 v27, s5
	v_add_co_u32_e32 v28, vcc, s4, v4
	v_addc_co_u32_e32 v27, vcc, v27, v5, vcc
	v_add_co_u32_e32 v24, vcc, v28, v24
	v_addc_co_u32_e32 v25, vcc, v27, v25, vcc
	v_add_co_u32_e32 v24, vcc, -2, v24
	v_addc_co_u32_e32 v25, vcc, -1, v25, vcc
	v_cmp_lt_i64_e32 vcc, -1, v[24:25]
	v_cmp_gt_i64_e64 s[0:1], s[20:21], v[24:25]
	s_and_b64 s[0:1], vcc, s[0:1]
	s_and_b64 s[0:1], s[0:1], exec
.LBB15_36:                              ;   in Loop: Header=BB15_4 Depth=1
	s_or_b64 exec, exec, s[48:49]
	s_and_b64 s[48:49], s[0:1], exec
                                        ; implicit-def: $vgpr24_vgpr25
	s_andn2_saveexec_b64 s[46:47], s[46:47]
	s_cbranch_execnz .LBB15_52
.LBB15_37:                              ;   in Loop: Header=BB15_4 Depth=1
	s_or_b64 exec, exec, s[46:47]
	s_and_saveexec_b64 s[0:1], s[48:49]
	s_cbranch_execz .LBB15_39
.LBB15_38:                              ;   in Loop: Header=BB15_4 Depth=1
	v_mul_lo_u32 v27, s55, v8
	v_mul_lo_u32 v28, s56, v9
	v_mad_u64_u32 v[24:25], s[46:47], s56, v8, 0
	v_add3_u32 v25, v25, v28, v27
	v_mul_lo_u32 v27, v13, s20
	v_mul_lo_u32 v30, v12, s21
	v_mad_u64_u32 v[28:29], s[46:47], v12, s20, 0
	v_lshlrev_b64 v[24:25], 4, v[24:25]
	v_add3_u32 v29, v29, v30, v27
	v_mov_b32_e32 v27, s11
	v_add_co_u32_e32 v30, vcc, s10, v24
	v_addc_co_u32_e32 v27, vcc, v27, v25, vcc
	v_lshlrev_b64 v[24:25], 4, v[28:29]
	v_add_co_u32_e32 v24, vcc, v30, v24
	v_addc_co_u32_e32 v25, vcc, v27, v25, vcc
	v_lshlrev_b64 v[22:23], 4, v[22:23]
	v_add_co_u32_e32 v22, vcc, v24, v22
	v_addc_co_u32_e32 v23, vcc, v25, v23, vcc
	global_load_dwordx4 v[22:25], v[22:23], off
	s_waitcnt vmcnt(0)
	v_add_f64 v[16:17], v[16:17], v[22:23]
	v_add_f64 v[14:15], v[14:15], v[24:25]
.LBB15_39:                              ;   in Loop: Header=BB15_4 Depth=1
	s_or_b64 exec, exec, s[0:1]
.LBB15_40:                              ;   in Loop: Header=BB15_4 Depth=1
	s_or_b64 exec, exec, s[44:45]
                                        ; implicit-def: $vgpr22_vgpr23
	s_and_saveexec_b64 s[0:1], s[42:43]
	s_xor_b64 s[0:1], exec, s[0:1]
	s_cbranch_execz .LBB15_43
; %bb.41:                               ;   in Loop: Header=BB15_4 Depth=1
	v_mov_b32_e32 v20, s19
	v_add_co_u32_e32 v21, vcc, s18, v18
	v_addc_co_u32_e32 v20, vcc, v19, v20, vcc
	v_mul_lo_u32 v20, v20, s51
	v_mul_lo_u32 v24, v21, s52
	v_mad_u64_u32 v[22:23], s[42:43], v21, s51, 0
	v_add3_u32 v23, v23, v24, v20
                                        ; implicit-def: $vgpr20_vgpr21
	s_andn2_saveexec_b64 s[42:43], s[0:1]
	s_cbranch_execnz .LBB15_44
.LBB15_42:                              ;   in Loop: Header=BB15_4 Depth=1
	s_or_b64 exec, exec, s[42:43]
	s_and_saveexec_b64 s[42:43], s[2:3]
	s_cbranch_execz .LBB15_3
	s_branch .LBB15_47
.LBB15_43:                              ;   in Loop: Header=BB15_4 Depth=1
	s_andn2_saveexec_b64 s[42:43], s[0:1]
	s_cbranch_execz .LBB15_42
.LBB15_44:                              ;   in Loop: Header=BB15_4 Depth=1
	v_mov_b32_e32 v22, s19
	v_add_co_u32_e32 v23, vcc, s18, v18
	v_addc_co_u32_e32 v22, vcc, v19, v22, vcc
	v_mul_lo_u32 v24, v22, s51
	v_mul_lo_u32 v25, v23, s52
	v_mad_u64_u32 v[22:23], s[0:1], v23, s51, 0
	v_add3_u32 v23, v23, v25, v24
	v_sub_co_u32_e32 v20, vcc, v22, v20
	v_subb_co_u32_e32 v21, vcc, v23, v21, vcc
	v_mov_b32_e32 v24, s5
	v_add_co_u32_e32 v25, vcc, s4, v4
	v_addc_co_u32_e32 v24, vcc, v24, v5, vcc
	v_add_co_u32_e32 v20, vcc, v25, v20
	v_addc_co_u32_e32 v21, vcc, v24, v21, vcc
	v_cmp_lt_i64_e32 vcc, -1, v[20:21]
	v_cmp_gt_i64_e64 s[0:1], s[20:21], v[20:21]
	s_and_b64 s[44:45], vcc, s[0:1]
	s_and_saveexec_b64 s[0:1], s[44:45]
	s_cbranch_execz .LBB15_46
; %bb.45:                               ;   in Loop: Header=BB15_4 Depth=1
	v_mul_lo_u32 v27, s55, v8
	v_mul_lo_u32 v28, s56, v9
	v_mad_u64_u32 v[24:25], s[44:45], s56, v8, 0
	v_add3_u32 v25, v25, v28, v27
	v_mul_lo_u32 v27, v13, s20
	v_mul_lo_u32 v30, v12, s21
	v_mad_u64_u32 v[28:29], s[44:45], v12, s20, 0
	v_lshlrev_b64 v[24:25], 4, v[24:25]
	v_add3_u32 v29, v29, v30, v27
	v_mov_b32_e32 v27, s11
	v_add_co_u32_e32 v30, vcc, s10, v24
	v_addc_co_u32_e32 v27, vcc, v27, v25, vcc
	v_lshlrev_b64 v[24:25], 4, v[28:29]
	v_add_co_u32_e32 v24, vcc, v30, v24
	v_addc_co_u32_e32 v25, vcc, v27, v25, vcc
	v_lshlrev_b64 v[20:21], 4, v[20:21]
	v_add_co_u32_e32 v20, vcc, v24, v20
	v_addc_co_u32_e32 v21, vcc, v25, v21, vcc
	global_load_dwordx4 v[28:31], v[20:21], off
	s_waitcnt vmcnt(0)
	v_add_f64 v[16:17], v[16:17], v[28:29]
	v_add_f64 v[14:15], v[14:15], v[30:31]
.LBB15_46:                              ;   in Loop: Header=BB15_4 Depth=1
	s_or_b64 exec, exec, s[0:1]
	s_or_b64 exec, exec, s[42:43]
	s_and_saveexec_b64 s[42:43], s[2:3]
	s_cbranch_execz .LBB15_3
.LBB15_47:                              ;   in Loop: Header=BB15_4 Depth=1
	v_mad_u64_u32 v[18:19], s[0:1], s14, v10, v[18:19]
	v_mul_lo_u32 v11, s14, v11
	v_mul_lo_u32 v10, s15, v10
	v_add3_u32 v10, v10, v19, v11
	v_add_co_u32_e32 v11, vcc, 2, v18
	v_addc_co_u32_e32 v10, vcc, 0, v10, vcc
	v_mul_lo_u32 v18, s12, v10
	v_mul_lo_u32 v19, s13, v11
	v_mad_u64_u32 v[10:11], s[0:1], s12, v11, v[22:23]
	v_add3_u32 v11, v19, v11, v18
	v_mov_b32_e32 v18, s5
	v_add_co_u32_e32 v19, vcc, s4, v4
	v_addc_co_u32_e32 v18, vcc, v18, v5, vcc
	v_add_co_u32_e32 v10, vcc, v19, v10
	v_addc_co_u32_e32 v11, vcc, v18, v11, vcc
	v_add_co_u32_e32 v10, vcc, -2, v10
	v_addc_co_u32_e32 v11, vcc, -1, v11, vcc
	v_cmp_lt_i64_e32 vcc, -1, v[10:11]
	v_cmp_gt_i64_e64 s[0:1], s[20:21], v[10:11]
	s_and_b64 s[2:3], vcc, s[0:1]
	s_and_saveexec_b64 s[0:1], s[2:3]
	s_cbranch_execz .LBB15_2
; %bb.48:                               ;   in Loop: Header=BB15_4 Depth=1
	v_mul_lo_u32 v20, s55, v8
	v_mul_lo_u32 v21, s56, v9
	v_mad_u64_u32 v[18:19], s[2:3], s56, v8, 0
	v_add3_u32 v19, v19, v21, v20
	v_mul_lo_u32 v24, v13, s20
	v_mul_lo_u32 v25, v12, s21
	v_mad_u64_u32 v[20:21], s[2:3], v12, s20, 0
	v_lshlrev_b64 v[18:19], 4, v[18:19]
	v_add3_u32 v21, v21, v25, v24
	v_mov_b32_e32 v24, s11
	v_add_co_u32_e32 v25, vcc, s10, v18
	v_addc_co_u32_e32 v24, vcc, v24, v19, vcc
	v_lshlrev_b64 v[18:19], 4, v[20:21]
	v_add_co_u32_e32 v18, vcc, v25, v18
	v_addc_co_u32_e32 v19, vcc, v24, v19, vcc
	v_lshlrev_b64 v[10:11], 4, v[10:11]
	v_add_co_u32_e32 v10, vcc, v18, v10
	v_addc_co_u32_e32 v11, vcc, v19, v11, vcc
	global_load_dwordx4 v[18:21], v[10:11], off
	s_waitcnt vmcnt(0)
	v_add_f64 v[16:17], v[16:17], v[18:19]
	v_add_f64 v[14:15], v[14:15], v[20:21]
	s_branch .LBB15_2
.LBB15_49:                              ;   in Loop: Header=BB15_4 Depth=1
	s_andn2_saveexec_b64 s[48:49], s[48:49]
	s_cbranch_execz .LBB15_27
.LBB15_50:                              ;   in Loop: Header=BB15_4 Depth=1
	v_sub_co_u32_e32 v22, vcc, v24, v20
	v_subb_co_u32_e32 v23, vcc, v25, v21, vcc
	v_mov_b32_e32 v24, s5
	v_add_co_u32_e32 v25, vcc, s4, v4
	v_addc_co_u32_e32 v24, vcc, v24, v5, vcc
	v_add_co_u32_e32 v22, vcc, v25, v22
	v_addc_co_u32_e32 v23, vcc, v24, v23, vcc
	v_cmp_lt_i64_e32 vcc, -1, v[22:23]
	v_cmp_gt_i64_e64 s[0:1], s[20:21], v[22:23]
	s_and_b64 s[0:1], vcc, s[0:1]
	s_andn2_b64 s[46:47], s[46:47], exec
	s_and_b64 s[0:1], s[0:1], exec
	s_or_b64 s[46:47], s[46:47], s[0:1]
	s_or_b64 exec, exec, s[48:49]
	s_and_saveexec_b64 s[0:1], s[46:47]
	s_cbranch_execnz .LBB15_28
	s_branch .LBB15_29
.LBB15_51:                              ;   in Loop: Header=BB15_4 Depth=1
	s_andn2_saveexec_b64 s[46:47], s[46:47]
	s_cbranch_execz .LBB15_37
.LBB15_52:                              ;   in Loop: Header=BB15_4 Depth=1
	v_sub_co_u32_e32 v22, vcc, v24, v20
	v_subb_co_u32_e32 v23, vcc, v25, v21, vcc
	v_mov_b32_e32 v24, s5
	v_add_co_u32_e32 v25, vcc, s4, v4
	v_addc_co_u32_e32 v24, vcc, v24, v5, vcc
	v_add_co_u32_e32 v22, vcc, v25, v22
	v_addc_co_u32_e32 v23, vcc, v24, v23, vcc
	v_cmp_lt_i64_e32 vcc, -1, v[22:23]
	v_cmp_gt_i64_e64 s[0:1], s[20:21], v[22:23]
	s_and_b64 s[0:1], vcc, s[0:1]
	s_andn2_b64 s[48:49], s[48:49], exec
	s_and_b64 s[0:1], s[0:1], exec
	s_or_b64 s[48:49], s[48:49], s[0:1]
	s_or_b64 exec, exec, s[46:47]
	s_and_saveexec_b64 s[0:1], s[48:49]
	s_cbranch_execnz .LBB15_38
	s_branch .LBB15_39
.LBB15_53:
	s_endpgm
	.section	.rodata,"a",@progbits
	.p2align	6, 0x0
	.amdhsa_kernel _ZN2at6native12_GLOBAL__N_140reflection_pad2d_backward_det_out_kernelIN3c107complexIdEEEEvPT_PKS6_lliiiiiii
		.amdhsa_group_segment_fixed_size 0
		.amdhsa_private_segment_fixed_size 0
		.amdhsa_kernarg_size 320
		.amdhsa_user_sgpr_count 6
		.amdhsa_user_sgpr_private_segment_buffer 1
		.amdhsa_user_sgpr_dispatch_ptr 0
		.amdhsa_user_sgpr_queue_ptr 0
		.amdhsa_user_sgpr_kernarg_segment_ptr 1
		.amdhsa_user_sgpr_dispatch_id 0
		.amdhsa_user_sgpr_flat_scratch_init 0
		.amdhsa_user_sgpr_kernarg_preload_length 0
		.amdhsa_user_sgpr_kernarg_preload_offset 0
		.amdhsa_user_sgpr_private_segment_size 0
		.amdhsa_uses_dynamic_stack 0
		.amdhsa_system_sgpr_private_segment_wavefront_offset 0
		.amdhsa_system_sgpr_workgroup_id_x 1
		.amdhsa_system_sgpr_workgroup_id_y 0
		.amdhsa_system_sgpr_workgroup_id_z 0
		.amdhsa_system_sgpr_workgroup_info 0
		.amdhsa_system_vgpr_workitem_id 0
		.amdhsa_next_free_vgpr 36
		.amdhsa_next_free_sgpr 69
		.amdhsa_accum_offset 36
		.amdhsa_reserve_vcc 1
		.amdhsa_reserve_flat_scratch 0
		.amdhsa_float_round_mode_32 0
		.amdhsa_float_round_mode_16_64 0
		.amdhsa_float_denorm_mode_32 3
		.amdhsa_float_denorm_mode_16_64 3
		.amdhsa_dx10_clamp 1
		.amdhsa_ieee_mode 1
		.amdhsa_fp16_overflow 0
		.amdhsa_tg_split 0
		.amdhsa_exception_fp_ieee_invalid_op 0
		.amdhsa_exception_fp_denorm_src 0
		.amdhsa_exception_fp_ieee_div_zero 0
		.amdhsa_exception_fp_ieee_overflow 0
		.amdhsa_exception_fp_ieee_underflow 0
		.amdhsa_exception_fp_ieee_inexact 0
		.amdhsa_exception_int_div_zero 0
	.end_amdhsa_kernel
	.section	.text._ZN2at6native12_GLOBAL__N_140reflection_pad2d_backward_det_out_kernelIN3c107complexIdEEEEvPT_PKS6_lliiiiiii,"axG",@progbits,_ZN2at6native12_GLOBAL__N_140reflection_pad2d_backward_det_out_kernelIN3c107complexIdEEEEvPT_PKS6_lliiiiiii,comdat
.Lfunc_end15:
	.size	_ZN2at6native12_GLOBAL__N_140reflection_pad2d_backward_det_out_kernelIN3c107complexIdEEEEvPT_PKS6_lliiiiiii, .Lfunc_end15-_ZN2at6native12_GLOBAL__N_140reflection_pad2d_backward_det_out_kernelIN3c107complexIdEEEEvPT_PKS6_lliiiiiii
                                        ; -- End function
	.section	.AMDGPU.csdata,"",@progbits
; Kernel info:
; codeLenInByte = 6208
; NumSgprs: 73
; NumVgprs: 36
; NumAgprs: 0
; TotalNumVgprs: 36
; ScratchSize: 0
; MemoryBound: 0
; FloatMode: 240
; IeeeMode: 1
; LDSByteSize: 0 bytes/workgroup (compile time only)
; SGPRBlocks: 9
; VGPRBlocks: 4
; NumSGPRsForWavesPerEU: 73
; NumVGPRsForWavesPerEU: 36
; AccumOffset: 36
; Occupancy: 8
; WaveLimiterHint : 0
; COMPUTE_PGM_RSRC2:SCRATCH_EN: 0
; COMPUTE_PGM_RSRC2:USER_SGPR: 6
; COMPUTE_PGM_RSRC2:TRAP_HANDLER: 0
; COMPUTE_PGM_RSRC2:TGID_X_EN: 1
; COMPUTE_PGM_RSRC2:TGID_Y_EN: 0
; COMPUTE_PGM_RSRC2:TGID_Z_EN: 0
; COMPUTE_PGM_RSRC2:TIDIG_COMP_CNT: 0
; COMPUTE_PGM_RSRC3_GFX90A:ACCUM_OFFSET: 8
; COMPUTE_PGM_RSRC3_GFX90A:TG_SPLIT: 0
	.section	.text._ZN2at6native12_GLOBAL__N_136reflection_pad2d_backward_out_kernelIN3c107complexIdEEEEvPT_PKS6_lliiiiiii,"axG",@progbits,_ZN2at6native12_GLOBAL__N_136reflection_pad2d_backward_out_kernelIN3c107complexIdEEEEvPT_PKS6_lliiiiiii,comdat
	.globl	_ZN2at6native12_GLOBAL__N_136reflection_pad2d_backward_out_kernelIN3c107complexIdEEEEvPT_PKS6_lliiiiiii ; -- Begin function _ZN2at6native12_GLOBAL__N_136reflection_pad2d_backward_out_kernelIN3c107complexIdEEEEvPT_PKS6_lliiiiiii
	.p2align	8
	.type	_ZN2at6native12_GLOBAL__N_136reflection_pad2d_backward_out_kernelIN3c107complexIdEEEEvPT_PKS6_lliiiiiii,@function
_ZN2at6native12_GLOBAL__N_136reflection_pad2d_backward_out_kernelIN3c107complexIdEEEEvPT_PKS6_lliiiiiii: ; @_ZN2at6native12_GLOBAL__N_136reflection_pad2d_backward_out_kernelIN3c107complexIdEEEEvPT_PKS6_lliiiiiii
; %bb.0:
	s_load_dword s9, s[4:5], 0x4c
	s_load_dwordx4 s[0:3], s[4:5], 0x20
	s_load_dwordx8 s[12:19], s[4:5], 0x0
	v_mov_b32_e32 v1, 0
	s_waitcnt lgkmcnt(0)
	s_and_b32 s9, s9, 0xffff
	s_ashr_i32 s11, s2, 31
	s_add_u32 s31, s2, s16
	s_mul_i32 s6, s6, s9
	s_mov_b32 s10, s2
	s_addc_u32 s33, s11, s17
	s_ashr_i32 s2, s3, 31
	v_add_u32_e32 v0, s6, v0
	s_add_u32 s6, s31, s3
	s_addc_u32 s3, s33, s2
	s_ashr_i32 s25, s0, 31
	s_add_u32 s34, s0, s18
	s_mov_b32 s24, s0
	s_addc_u32 s35, s25, s19
	s_ashr_i32 s0, s1, 31
	s_add_u32 s9, s34, s1
	s_addc_u32 s30, s35, s0
	s_mul_i32 s0, s6, s30
	s_mul_hi_u32 s1, s6, s9
	s_add_i32 s0, s1, s0
	s_mul_i32 s1, s3, s9
	s_add_i32 s1, s0, s1
	s_mul_i32 s0, s6, s9
	v_cmp_gt_i64_e32 vcc, s[0:1], v[0:1]
	s_and_saveexec_b64 s[0:1], vcc
	s_cbranch_execz .LBB16_8
; %bb.1:
	s_load_dwordx4 s[20:23], s[4:5], 0x30
	s_mov_b32 s2, 0
	s_cmp_lg_u64 s[2:3], 0
	s_cbranch_scc0 .LBB16_9
; %bb.2:
	s_ashr_i32 s26, s3, 31
	s_add_u32 s0, s6, s26
	s_mov_b32 s27, s26
	s_addc_u32 s1, s3, s26
	s_xor_b64 s[28:29], s[0:1], s[26:27]
	v_cvt_f32_u32_e32 v1, s28
	v_cvt_f32_u32_e32 v2, s29
	s_sub_u32 s0, 0, s28
	s_subb_u32 s1, 0, s29
	v_madmk_f32 v1, v2, 0x4f800000, v1
	v_rcp_f32_e32 v1, v1
	v_mul_f32_e32 v1, 0x5f7ffffc, v1
	v_mul_f32_e32 v2, 0x2f800000, v1
	v_trunc_f32_e32 v2, v2
	v_madmk_f32 v1, v2, 0xcf800000, v1
	v_cvt_u32_f32_e32 v2, v2
	v_cvt_u32_f32_e32 v1, v1
	v_mul_lo_u32 v3, s0, v2
	v_mul_hi_u32 v5, s0, v1
	v_mul_lo_u32 v4, s1, v1
	v_add_u32_e32 v3, v5, v3
	v_add_u32_e32 v3, v3, v4
	v_mul_lo_u32 v6, s0, v1
	v_mul_lo_u32 v5, v1, v3
	v_mul_hi_u32 v7, v1, v6
	v_mul_hi_u32 v4, v1, v3
	v_add_co_u32_e32 v5, vcc, v7, v5
	v_addc_co_u32_e32 v4, vcc, 0, v4, vcc
	v_mul_hi_u32 v8, v2, v6
	v_mul_lo_u32 v6, v2, v6
	v_add_co_u32_e32 v5, vcc, v5, v6
	v_mul_hi_u32 v7, v2, v3
	v_addc_co_u32_e32 v4, vcc, v4, v8, vcc
	v_addc_co_u32_e32 v5, vcc, 0, v7, vcc
	v_mul_lo_u32 v3, v2, v3
	v_add_co_u32_e32 v3, vcc, v4, v3
	v_addc_co_u32_e32 v4, vcc, 0, v5, vcc
	v_add_co_u32_e32 v1, vcc, v1, v3
	v_addc_co_u32_e32 v2, vcc, v2, v4, vcc
	v_mul_lo_u32 v3, s0, v2
	v_mul_hi_u32 v4, s0, v1
	v_add_u32_e32 v3, v4, v3
	v_mul_lo_u32 v4, s1, v1
	v_add_u32_e32 v3, v3, v4
	v_mul_lo_u32 v5, s0, v1
	v_mul_hi_u32 v6, v2, v5
	v_mul_lo_u32 v7, v2, v5
	v_mul_lo_u32 v9, v1, v3
	v_mul_hi_u32 v5, v1, v5
	v_mul_hi_u32 v8, v1, v3
	v_add_co_u32_e32 v5, vcc, v5, v9
	v_addc_co_u32_e32 v8, vcc, 0, v8, vcc
	v_add_co_u32_e32 v5, vcc, v5, v7
	v_mul_hi_u32 v4, v2, v3
	v_addc_co_u32_e32 v5, vcc, v8, v6, vcc
	v_addc_co_u32_e32 v4, vcc, 0, v4, vcc
	v_mul_lo_u32 v3, v2, v3
	v_add_co_u32_e32 v3, vcc, v5, v3
	v_addc_co_u32_e32 v4, vcc, 0, v4, vcc
	v_add_co_u32_e32 v1, vcc, v1, v3
	v_addc_co_u32_e32 v4, vcc, v2, v4, vcc
	v_ashrrev_i32_e64 v6, 31, 0
	v_add_co_u32_e32 v2, vcc, v0, v6
	v_addc_co_u32_e32 v3, vcc, 0, v6, vcc
	v_xor_b32_e32 v8, v2, v6
	v_xor_b32_e32 v7, v3, v6
	v_mad_u64_u32 v[2:3], s[0:1], v8, v4, 0
	v_mul_hi_u32 v5, v8, v1
	v_add_co_u32_e32 v9, vcc, v5, v2
	v_addc_co_u32_e32 v10, vcc, 0, v3, vcc
	v_mad_u64_u32 v[2:3], s[0:1], v7, v4, 0
	v_mad_u64_u32 v[4:5], s[0:1], v7, v1, 0
	v_add_co_u32_e32 v1, vcc, v9, v4
	v_addc_co_u32_e32 v1, vcc, v10, v5, vcc
	v_addc_co_u32_e32 v3, vcc, 0, v3, vcc
	v_add_co_u32_e32 v1, vcc, v1, v2
	v_addc_co_u32_e32 v4, vcc, 0, v3, vcc
	v_mul_lo_u32 v5, s29, v1
	v_mul_lo_u32 v9, s28, v4
	v_mad_u64_u32 v[2:3], s[0:1], s28, v1, 0
	v_add3_u32 v3, v3, v9, v5
	v_sub_u32_e32 v5, v7, v3
	v_mov_b32_e32 v9, s29
	v_sub_co_u32_e32 v2, vcc, v8, v2
	v_subb_co_u32_e64 v5, s[0:1], v5, v9, vcc
	v_subrev_co_u32_e64 v8, s[0:1], s28, v2
	v_subbrev_co_u32_e64 v5, s[0:1], 0, v5, s[0:1]
	v_cmp_le_u32_e64 s[0:1], s29, v5
	v_cndmask_b32_e64 v9, 0, -1, s[0:1]
	v_cmp_le_u32_e64 s[0:1], s28, v8
	v_cndmask_b32_e64 v8, 0, -1, s[0:1]
	v_cmp_eq_u32_e64 s[0:1], s29, v5
	v_cndmask_b32_e64 v5, v9, v8, s[0:1]
	v_add_co_u32_e64 v8, s[0:1], 2, v1
	v_subb_co_u32_e32 v3, vcc, v7, v3, vcc
	v_addc_co_u32_e64 v9, s[0:1], 0, v4, s[0:1]
	v_cmp_le_u32_e32 vcc, s29, v3
	v_add_co_u32_e64 v10, s[0:1], 1, v1
	v_cndmask_b32_e64 v7, 0, -1, vcc
	v_cmp_le_u32_e32 vcc, s28, v2
	v_addc_co_u32_e64 v11, s[0:1], 0, v4, s[0:1]
	v_cndmask_b32_e64 v2, 0, -1, vcc
	v_cmp_eq_u32_e32 vcc, s29, v3
	v_cmp_ne_u32_e64 s[0:1], 0, v5
	v_cndmask_b32_e32 v2, v7, v2, vcc
	v_cmp_ne_u32_e32 vcc, 0, v2
	v_cndmask_b32_e64 v3, v10, v8, s[0:1]
	v_cndmask_b32_e64 v5, v11, v9, s[0:1]
	v_cndmask_b32_e32 v1, v1, v3, vcc
	v_xor_b32_e32 v3, s26, v6
	v_cndmask_b32_e32 v2, v4, v5, vcc
	v_xor_b32_e32 v1, v1, v3
	v_xor_b32_e32 v4, v2, v3
	v_sub_co_u32_e32 v2, vcc, v1, v3
	v_subb_co_u32_e32 v3, vcc, v4, v3, vcc
	s_cbranch_execnz .LBB16_4
.LBB16_3:
	v_cvt_f32_u32_e32 v1, s6
	s_sub_i32 s0, 0, s6
	v_rcp_iflag_f32_e32 v1, v1
	v_mul_f32_e32 v1, 0x4f7ffffe, v1
	v_cvt_u32_f32_e32 v1, v1
	v_mul_lo_u32 v2, s0, v1
	v_mul_hi_u32 v2, v1, v2
	v_add_u32_e32 v1, v1, v2
	v_mul_hi_u32 v1, v0, v1
	v_mul_lo_u32 v2, v1, s6
	v_sub_u32_e32 v2, v0, v2
	v_add_u32_e32 v3, 1, v1
	v_subrev_u32_e32 v4, s6, v2
	v_cmp_le_u32_e32 vcc, s6, v2
	v_cndmask_b32_e32 v2, v2, v4, vcc
	v_cndmask_b32_e32 v1, v1, v3, vcc
	v_add_u32_e32 v3, 1, v1
	v_cmp_le_u32_e32 vcc, s6, v2
	v_cndmask_b32_e32 v2, v1, v3, vcc
	v_mov_b32_e32 v3, 0
.LBB16_4:
	s_sub_u32 s0, 0, s24
	s_subb_u32 s1, 0, s25
	s_sub_u32 s4, 0, s10
	s_subb_u32 s5, 0, s11
	s_waitcnt lgkmcnt(0)
	s_add_i32 s2, s7, s20
	s_add_i32 s7, s8, s21
	s_mul_i32 s7, s7, s22
	s_add_i32 s2, s2, s7
	s_mul_i32 s7, s2, s19
	s_mul_hi_u32 s8, s2, s18
	s_add_i32 s8, s8, s7
	s_mul_i32 s7, s2, s18
	v_mul_lo_u32 v1, v3, s6
	v_mul_lo_u32 v6, v2, s3
	v_mad_u64_u32 v[4:5], s[18:19], v2, s6, 0
	v_add3_u32 v1, v5, v6, v1
	v_sub_co_u32_e32 v0, vcc, v0, v4
	v_subb_co_u32_e32 v1, vcc, 0, v1, vcc
	v_mov_b32_e32 v5, s11
	v_subrev_co_u32_e32 v4, vcc, s10, v0
	v_subb_co_u32_e32 v5, vcc, v1, v5, vcc
	v_ashrrev_i32_e32 v6, 31, v5
	v_xor_b32_e32 v4, v4, v6
	v_xor_b32_e32 v5, v5, v6
	v_sub_co_u32_e32 v4, vcc, v4, v6
	v_subb_co_u32_e32 v5, vcc, v5, v6, vcc
	v_mov_b32_e32 v6, s33
	v_subrev_co_u32_e32 v7, vcc, s31, v0
	v_subb_co_u32_e32 v6, vcc, v1, v6, vcc
	v_add_co_u32_e32 v7, vcc, 1, v7
	v_addc_co_u32_e32 v6, vcc, 0, v6, vcc
	v_ashrrev_i32_e32 v8, 31, v6
	v_xor_b32_e32 v7, v7, v8
	v_xor_b32_e32 v6, v6, v8
	v_sub_co_u32_e32 v9, vcc, v7, v8
	v_cmp_gt_i64_e64 s[18:19], s[4:5], 0
	v_subb_co_u32_e32 v8, vcc, v6, v8, vcc
	s_and_b64 s[18:19], s[18:19], exec
	v_mov_b32_e32 v6, s25
	v_subrev_co_u32_e32 v7, vcc, s24, v2
	s_cselect_b32 s18, s5, 0
	s_cselect_b32 s19, s4, 0
	v_cmp_gt_i64_e64 s[4:5], s[0:1], 0
	v_subb_co_u32_e32 v6, vcc, v3, v6, vcc
	s_and_b64 s[4:5], s[4:5], exec
	v_ashrrev_i32_e32 v10, 31, v6
	s_cselect_b32 s20, s1, 0
	s_cselect_b32 s21, s0, 0
	v_cmp_gt_i64_e64 s[0:1], s[10:11], 0
	v_xor_b32_e32 v7, v7, v10
	s_and_b64 s[0:1], s[0:1], exec
	v_cmp_gt_i64_e64 s[4:5], s[24:25], 0
	v_xor_b32_e32 v6, v6, v10
	v_sub_co_u32_e32 v7, vcc, v7, v10
	s_cselect_b32 s1, s11, 0
	s_cselect_b32 s0, s10, 0
	s_and_b64 s[4:5], s[4:5], exec
	v_subb_co_u32_e32 v6, vcc, v6, v10, vcc
	s_cselect_b32 s5, s25, 0
	s_cselect_b32 s4, s24, 0
	v_mov_b32_e32 v10, s35
	v_subrev_co_u32_e32 v11, vcc, s34, v2
	s_not_b64 s[0:1], s[0:1]
	v_subb_co_u32_e32 v10, vcc, v3, v10, vcc
	s_not_b64 s[4:5], s[4:5]
	v_add_co_u32_e32 v11, vcc, 1, v11
	s_add_u32 s22, s34, s24
	v_addc_co_u32_e32 v10, vcc, 0, v10, vcc
	s_addc_u32 s23, s35, s25
	v_ashrrev_i32_e32 v12, 31, v10
	s_add_u32 s4, s22, s4
	v_xor_b32_e32 v11, v11, v12
	s_addc_u32 s5, s23, s5
	v_xor_b32_e32 v10, v10, v12
	v_sub_co_u32_e32 v11, vcc, v11, v12
	s_add_u32 s4, s4, s21
	v_subb_co_u32_e32 v10, vcc, v10, v12, vcc
	s_addc_u32 s5, s5, s20
	s_add_u32 s4, s4, s7
	v_add_co_u32_e32 v11, vcc, v2, v11
	s_addc_u32 s5, s5, s8
	v_addc_co_u32_e32 v10, vcc, v3, v10, vcc
	v_mov_b32_e32 v12, s5
	v_sub_co_u32_e32 v11, vcc, s4, v11
	v_subb_co_u32_e32 v10, vcc, v12, v10, vcc
	v_add_co_u32_e32 v7, vcc, v11, v7
	v_addc_co_u32_e32 v6, vcc, v10, v6, vcc
	v_mul_lo_u32 v10, v6, s16
	v_mul_lo_u32 v11, v7, s17
	v_mad_u64_u32 v[6:7], s[4:5], v7, s16, 0
	s_add_u32 s4, s31, s10
	s_addc_u32 s5, s33, s11
	s_add_u32 s0, s4, s0
	s_addc_u32 s1, s5, s1
	s_add_u32 s0, s0, s19
	v_add_co_u32_e32 v9, vcc, v0, v9
	v_add3_u32 v7, v7, v11, v10
	s_addc_u32 s1, s1, s18
	v_addc_co_u32_e32 v10, vcc, v1, v8, vcc
	v_mov_b32_e32 v11, s1
	v_sub_co_u32_e32 v8, vcc, s0, v9
	v_subb_co_u32_e32 v9, vcc, v11, v10, vcc
	v_mov_b32_e32 v10, s2
	s_mul_i32 s30, s30, s2
	v_mad_u64_u32 v[2:3], s[0:1], s9, v10, v[2:3]
	v_add_u32_e32 v3, s30, v3
	v_mul_lo_u32 v10, v3, s6
	v_mul_lo_u32 v11, v2, s3
	v_mad_u64_u32 v[2:3], s[0:1], v2, s6, 0
	v_lshlrev_b64 v[8:9], 4, v[8:9]
	v_add3_u32 v3, v3, v11, v10
	v_mov_b32_e32 v10, s13
	v_add_co_u32_e32 v8, vcc, s12, v8
	v_addc_co_u32_e32 v9, vcc, v10, v9, vcc
	v_lshlrev_b64 v[4:5], 4, v[4:5]
	v_add_co_u32_e32 v8, vcc, v8, v4
	v_addc_co_u32_e32 v9, vcc, v9, v5, vcc
	v_lshlrev_b64 v[4:5], 4, v[6:7]
	;; [unrolled: 3-line block ×3, first 2 shown]
	v_mov_b32_e32 v4, s15
	v_add_co_u32_e32 v2, vcc, s14, v2
	v_addc_co_u32_e32 v3, vcc, v4, v3, vcc
	v_lshlrev_b64 v[0:1], 4, v[0:1]
	v_add_co_u32_e32 v4, vcc, v2, v0
	v_addc_co_u32_e32 v5, vcc, v3, v1, vcc
	global_load_dwordx4 v[0:3], v[4:5], off
	global_load_dwordx2 v[6:7], v[8:9], off
	s_mov_b64 s[0:1], 0
.LBB16_5:                               ; =>This Inner Loop Header: Depth=1
	s_waitcnt vmcnt(0)
	v_add_f64 v[4:5], v[6:7], v[0:1]
	global_atomic_cmpswap_x2 v[4:5], v[8:9], v[4:7], off glc
	s_waitcnt vmcnt(0)
	v_cmp_eq_u64_e32 vcc, v[4:5], v[6:7]
	s_or_b64 s[0:1], vcc, s[0:1]
	v_pk_mov_b32 v[6:7], v[4:5], v[4:5] op_sel:[0,1]
	s_andn2_b64 exec, exec, s[0:1]
	s_cbranch_execnz .LBB16_5
; %bb.6:
	s_or_b64 exec, exec, s[0:1]
	global_load_dwordx2 v[6:7], v[8:9], off offset:8
	s_mov_b64 s[0:1], 0
.LBB16_7:                               ; =>This Inner Loop Header: Depth=1
	s_waitcnt vmcnt(0)
	v_add_f64 v[4:5], v[6:7], v[2:3]
	global_atomic_cmpswap_x2 v[0:1], v[8:9], v[4:7], off offset:8 glc
	s_waitcnt vmcnt(0)
	v_cmp_eq_u64_e32 vcc, v[0:1], v[6:7]
	s_or_b64 s[0:1], vcc, s[0:1]
	v_pk_mov_b32 v[6:7], v[0:1], v[0:1] op_sel:[0,1]
	s_andn2_b64 exec, exec, s[0:1]
	s_cbranch_execnz .LBB16_7
.LBB16_8:
	s_endpgm
.LBB16_9:
                                        ; implicit-def: $vgpr2_vgpr3
	s_branch .LBB16_3
	.section	.rodata,"a",@progbits
	.p2align	6, 0x0
	.amdhsa_kernel _ZN2at6native12_GLOBAL__N_136reflection_pad2d_backward_out_kernelIN3c107complexIdEEEEvPT_PKS6_lliiiiiii
		.amdhsa_group_segment_fixed_size 0
		.amdhsa_private_segment_fixed_size 0
		.amdhsa_kernarg_size 320
		.amdhsa_user_sgpr_count 6
		.amdhsa_user_sgpr_private_segment_buffer 1
		.amdhsa_user_sgpr_dispatch_ptr 0
		.amdhsa_user_sgpr_queue_ptr 0
		.amdhsa_user_sgpr_kernarg_segment_ptr 1
		.amdhsa_user_sgpr_dispatch_id 0
		.amdhsa_user_sgpr_flat_scratch_init 0
		.amdhsa_user_sgpr_kernarg_preload_length 0
		.amdhsa_user_sgpr_kernarg_preload_offset 0
		.amdhsa_user_sgpr_private_segment_size 0
		.amdhsa_uses_dynamic_stack 0
		.amdhsa_system_sgpr_private_segment_wavefront_offset 0
		.amdhsa_system_sgpr_workgroup_id_x 1
		.amdhsa_system_sgpr_workgroup_id_y 1
		.amdhsa_system_sgpr_workgroup_id_z 1
		.amdhsa_system_sgpr_workgroup_info 0
		.amdhsa_system_vgpr_workitem_id 0
		.amdhsa_next_free_vgpr 13
		.amdhsa_next_free_sgpr 36
		.amdhsa_accum_offset 16
		.amdhsa_reserve_vcc 1
		.amdhsa_reserve_flat_scratch 0
		.amdhsa_float_round_mode_32 0
		.amdhsa_float_round_mode_16_64 0
		.amdhsa_float_denorm_mode_32 3
		.amdhsa_float_denorm_mode_16_64 3
		.amdhsa_dx10_clamp 1
		.amdhsa_ieee_mode 1
		.amdhsa_fp16_overflow 0
		.amdhsa_tg_split 0
		.amdhsa_exception_fp_ieee_invalid_op 0
		.amdhsa_exception_fp_denorm_src 0
		.amdhsa_exception_fp_ieee_div_zero 0
		.amdhsa_exception_fp_ieee_overflow 0
		.amdhsa_exception_fp_ieee_underflow 0
		.amdhsa_exception_fp_ieee_inexact 0
		.amdhsa_exception_int_div_zero 0
	.end_amdhsa_kernel
	.section	.text._ZN2at6native12_GLOBAL__N_136reflection_pad2d_backward_out_kernelIN3c107complexIdEEEEvPT_PKS6_lliiiiiii,"axG",@progbits,_ZN2at6native12_GLOBAL__N_136reflection_pad2d_backward_out_kernelIN3c107complexIdEEEEvPT_PKS6_lliiiiiii,comdat
.Lfunc_end16:
	.size	_ZN2at6native12_GLOBAL__N_136reflection_pad2d_backward_out_kernelIN3c107complexIdEEEEvPT_PKS6_lliiiiiii, .Lfunc_end16-_ZN2at6native12_GLOBAL__N_136reflection_pad2d_backward_out_kernelIN3c107complexIdEEEEvPT_PKS6_lliiiiiii
                                        ; -- End function
	.section	.AMDGPU.csdata,"",@progbits
; Kernel info:
; codeLenInByte = 1684
; NumSgprs: 40
; NumVgprs: 13
; NumAgprs: 0
; TotalNumVgprs: 13
; ScratchSize: 0
; MemoryBound: 0
; FloatMode: 240
; IeeeMode: 1
; LDSByteSize: 0 bytes/workgroup (compile time only)
; SGPRBlocks: 4
; VGPRBlocks: 1
; NumSGPRsForWavesPerEU: 40
; NumVGPRsForWavesPerEU: 13
; AccumOffset: 16
; Occupancy: 8
; WaveLimiterHint : 0
; COMPUTE_PGM_RSRC2:SCRATCH_EN: 0
; COMPUTE_PGM_RSRC2:USER_SGPR: 6
; COMPUTE_PGM_RSRC2:TRAP_HANDLER: 0
; COMPUTE_PGM_RSRC2:TGID_X_EN: 1
; COMPUTE_PGM_RSRC2:TGID_Y_EN: 1
; COMPUTE_PGM_RSRC2:TGID_Z_EN: 1
; COMPUTE_PGM_RSRC2:TIDIG_COMP_CNT: 0
; COMPUTE_PGM_RSRC3_GFX90A:ACCUM_OFFSET: 3
; COMPUTE_PGM_RSRC3_GFX90A:TG_SPLIT: 0
	.section	.text._ZN2at6native12_GLOBAL__N_140reflection_pad2d_backward_det_out_kernelIN3c107complexIfEEEEvPT_PKS6_lliiiiiii,"axG",@progbits,_ZN2at6native12_GLOBAL__N_140reflection_pad2d_backward_det_out_kernelIN3c107complexIfEEEEvPT_PKS6_lliiiiiii,comdat
	.globl	_ZN2at6native12_GLOBAL__N_140reflection_pad2d_backward_det_out_kernelIN3c107complexIfEEEEvPT_PKS6_lliiiiiii ; -- Begin function _ZN2at6native12_GLOBAL__N_140reflection_pad2d_backward_det_out_kernelIN3c107complexIfEEEEvPT_PKS6_lliiiiiii
	.p2align	8
	.type	_ZN2at6native12_GLOBAL__N_140reflection_pad2d_backward_det_out_kernelIN3c107complexIfEEEEvPT_PKS6_lliiiiiii,@function
_ZN2at6native12_GLOBAL__N_140reflection_pad2d_backward_det_out_kernelIN3c107complexIfEEEEvPT_PKS6_lliiiiiii: ; @_ZN2at6native12_GLOBAL__N_140reflection_pad2d_backward_det_out_kernelIN3c107complexIfEEEEvPT_PKS6_lliiiiiii
; %bb.0:
	s_load_dword s2, s[4:5], 0x4c
	s_load_dwordx2 s[0:1], s[4:5], 0x30
	s_load_dwordx8 s[8:15], s[4:5], 0x0
	s_add_u32 s18, s4, 64
	s_addc_u32 s19, s5, 0
	s_waitcnt lgkmcnt(0)
	s_and_b32 s22, s2, 0xffff
	s_ashr_i32 s2, s0, 31
	s_mul_i32 s3, s14, s13
	s_mul_hi_u32 s16, s14, s12
	s_add_i32 s33, s16, s3
	s_mul_i32 s3, s15, s12
	s_mul_i32 s52, s14, s12
	s_add_i32 s33, s33, s3
	s_mul_i32 s2, s52, s2
	s_mul_hi_u32 s16, s52, s0
	s_ashr_i32 s7, s1, 31
	s_mul_i32 s3, s33, s0
	s_add_i32 s2, s16, s2
	s_mul_i32 s0, s52, s0
	s_add_i32 s2, s2, s3
	s_mul_i32 s3, s0, s7
	s_mul_hi_u32 s16, s0, s1
	s_mul_i32 s6, s6, s22
	v_mov_b32_e32 v2, 0
	s_mul_i32 s2, s2, s1
	s_add_i32 s3, s16, s3
	v_add_u32_e32 v0, s6, v0
	v_mov_b32_e32 v1, v2
	s_add_i32 s17, s3, s2
	s_mul_i32 s16, s0, s1
	s_mov_b32 s6, s1
	v_cmp_gt_i64_e32 vcc, s[16:17], v[0:1]
	s_and_saveexec_b64 s[0:1], vcc
	s_cbranch_execz .LBB17_53
; %bb.1:
	s_load_dwordx4 s[0:3], s[4:5], 0x20
	s_load_dword s24, s[18:19], 0x0
	v_sub_co_u32_e32 v4, vcc, 0, v0
	s_mul_i32 s56, s52, s6
	s_waitcnt lgkmcnt(0)
	s_ashr_i32 s5, s2, 31
	s_add_u32 s34, s2, s12
	s_addc_u32 s35, s5, s13
	s_ashr_i32 s31, s3, 31
	s_add_u32 s53, s34, s3
	s_addc_u32 s54, s35, s31
	s_ashr_i32 s19, s0, 31
	s_mov_b32 s30, s3
	s_add_u32 s3, s0, s14
	s_addc_u32 s20, s19, s15
	s_ashr_i32 s27, s1, 31
	s_mov_b32 s26, s1
	s_add_u32 s1, s3, s1
	s_addc_u32 s3, s20, s27
	s_mul_i32 s3, s53, s3
	s_mul_hi_u32 s20, s53, s1
	s_add_i32 s3, s20, s3
	s_mul_i32 s20, s54, s1
	s_add_i32 s21, s3, s20
	s_mul_i32 s20, s53, s1
	s_mul_i32 s1, s52, s7
	s_mul_hi_u32 s3, s52, s6
	s_add_i32 s1, s3, s1
	s_mul_i32 s3, s33, s6
	s_add_i32 s55, s1, s3
	s_mul_hi_u32 s23, s22, s24
	s_mul_i32 s22, s22, s24
	s_add_u32 s24, s14, -1
	s_addc_u32 s25, s15, -1
	s_not_b64 s[26:27], s[26:27]
	s_add_u32 s26, s26, s14
	s_addc_u32 s27, s27, s15
	s_add_u32 s28, s12, -1
	s_addc_u32 s29, s13, -1
	s_not_b64 s[30:31], s[30:31]
	s_add_u32 s30, s30, s12
	s_mul_i32 s1, s20, s7
	s_mul_hi_u32 s3, s20, s6
	s_addc_u32 s31, s31, s13
	s_add_i32 s1, s3, s1
	s_mul_i32 s3, s21, s6
	s_add_i32 s57, s1, s3
	s_add_u32 s1, s12, s34
	s_addc_u32 s3, s13, s35
	s_add_u32 s59, s1, -2
	s_addc_u32 s60, s3, -1
	s_lshl_b64 s[34:35], s[24:25], 1
	s_add_u32 s61, s34, s0
	s_mov_b32 s18, s0
	s_addc_u32 s62, s35, s19
	s_lshl_b64 s[0:1], s[28:29], 1
	s_add_u32 s63, s0, s2
	s_addc_u32 s64, s1, s5
	s_mov_b32 s4, s2
	s_sub_u32 s65, 0, s14
	v_subb_co_u32_e64 v5, s[0:1], 0, 0, vcc
	s_subb_u32 s66, 0, s15
	s_lshl_b64 s[36:37], s[6:7], 3
	s_lshl_b64 s[38:39], s[12:13], 3
	;; [unrolled: 1-line block ×3, first 2 shown]
	s_add_u32 s67, s10, s0
	s_addc_u32 s68, s11, s1
	s_lshl_b64 s[40:41], s[22:23], 3
	s_sub_u32 s69, 0, s52
	s_mul_i32 s58, s20, s6
	s_mov_b64 s[34:35], 0
	v_lshlrev_b64 v[6:7], 3, v[0:1]
	s_subb_u32 s70, 0, s33
	s_mov_b32 s42, 0
	s_branch .LBB17_4
.LBB17_2:                               ;   in Loop: Header=BB17_4 Depth=1
	s_or_b64 exec, exec, s[0:1]
.LBB17_3:                               ;   in Loop: Header=BB17_4 Depth=1
	s_or_b64 exec, exec, s[44:45]
	v_lshlrev_b64 v[10:11], 3, v[12:13]
	v_mul_lo_u32 v12, s36, v9
	v_mul_lo_u32 v13, s37, v8
	v_mad_u64_u32 v[8:9], s[0:1], s36, v8, v[10:11]
	v_add3_u32 v9, v13, v9, v12
	v_mul_lo_u32 v12, s39, v3
	v_mul_lo_u32 v13, s38, v24
	v_mad_u64_u32 v[10:11], s[0:1], s38, v3, 0
	v_add3_u32 v11, v11, v13, v12
	v_mul_lo_u32 v3, s20, v9
	v_mad_u64_u32 v[10:11], s[0:1], s20, v8, v[10:11]
	v_mul_lo_u32 v8, s21, v8
	v_add3_u32 v3, v8, v11, v3
	v_lshlrev_b64 v[8:9], 3, v[20:21]
	v_add_co_u32_e32 v8, vcc, v10, v8
	v_addc_co_u32_e32 v3, vcc, v3, v9, vcc
	v_add_co_u32_e32 v8, vcc, v6, v8
	v_addc_co_u32_e32 v3, vcc, v7, v3, vcc
	v_mov_b32_e32 v9, s68
	v_add_co_u32_e32 v8, vcc, s67, v8
	v_addc_co_u32_e32 v9, vcc, v9, v3, vcc
	v_mov_b32_e32 v3, s9
	v_add_co_u32_e32 v10, vcc, s8, v6
	v_addc_co_u32_e32 v11, vcc, v3, v7, vcc
	global_load_dwordx2 v[8:9], v[8:9], off
	s_nop 0
	global_load_dwordx2 v[12:13], v[10:11], off
	v_mov_b32_e32 v3, s23
	v_add_co_u32_e32 v0, vcc, s22, v0
	v_addc_co_u32_e32 v1, vcc, v1, v3, vcc
	v_subrev_co_u32_e32 v4, vcc, s22, v4
	v_subb_co_u32_e32 v5, vcc, v5, v3, vcc
	v_cmp_le_i64_e32 vcc, s[16:17], v[0:1]
	v_mov_b32_e32 v16, s41
	s_or_b64 s[34:35], vcc, s[34:35]
	v_add_co_u32_e32 v6, vcc, s40, v6
	v_addc_co_u32_e32 v7, vcc, v7, v16, vcc
	s_waitcnt vmcnt(1)
	v_pk_add_f32 v[8:9], v[14:15], v[8:9]
	s_waitcnt vmcnt(0)
	v_pk_add_f32 v[8:9], v[8:9], v[12:13]
	global_store_dwordx2 v[10:11], v[8:9], off
	s_andn2_b64 exec, exec, s[34:35]
	s_cbranch_execz .LBB17_53
.LBB17_4:                               ; =>This Inner Loop Header: Depth=1
	v_or_b32_e32 v3, s55, v1
	v_cmp_ne_u64_e32 vcc, 0, v[2:3]
	v_ashrrev_i32_e32 v12, 31, v1
                                        ; implicit-def: $vgpr8_vgpr9
	s_and_saveexec_b64 s[0:1], vcc
	s_xor_b64 s[2:3], exec, s[0:1]
	s_cbranch_execz .LBB17_6
; %bb.5:                                ;   in Loop: Header=BB17_4 Depth=1
	s_ashr_i32 s44, s55, 31
	s_add_u32 s0, s56, s44
	s_mov_b32 s45, s44
	s_addc_u32 s1, s55, s44
	s_xor_b64 s[46:47], s[0:1], s[44:45]
	v_cvt_f32_u32_e32 v3, s46
	v_cvt_f32_u32_e32 v8, s47
	s_sub_u32 s0, 0, s46
	s_subb_u32 s1, 0, s47
	v_mac_f32_e32 v3, 0x4f800000, v8
	v_rcp_f32_e32 v3, v3
	v_mul_f32_e32 v3, 0x5f7ffffc, v3
	v_mul_f32_e32 v8, 0x2f800000, v3
	v_trunc_f32_e32 v8, v8
	v_mac_f32_e32 v3, 0xcf800000, v8
	v_cvt_u32_f32_e32 v8, v8
	v_cvt_u32_f32_e32 v3, v3
	v_mul_lo_u32 v9, s0, v8
	v_mul_hi_u32 v11, s0, v3
	v_mul_lo_u32 v10, s1, v3
	v_add_u32_e32 v9, v11, v9
	v_mul_lo_u32 v13, s0, v3
	v_add_u32_e32 v9, v9, v10
	v_mul_lo_u32 v11, v3, v9
	v_mul_hi_u32 v14, v3, v13
	v_mul_hi_u32 v10, v3, v9
	v_add_co_u32_e32 v11, vcc, v14, v11
	v_addc_co_u32_e32 v10, vcc, 0, v10, vcc
	v_mul_hi_u32 v15, v8, v13
	v_mul_lo_u32 v13, v8, v13
	v_add_co_u32_e32 v11, vcc, v11, v13
	v_mul_hi_u32 v14, v8, v9
	v_addc_co_u32_e32 v10, vcc, v10, v15, vcc
	v_addc_co_u32_e32 v11, vcc, 0, v14, vcc
	v_mul_lo_u32 v9, v8, v9
	v_add_co_u32_e32 v9, vcc, v10, v9
	v_addc_co_u32_e32 v10, vcc, 0, v11, vcc
	v_add_co_u32_e32 v3, vcc, v3, v9
	v_addc_co_u32_e32 v8, vcc, v8, v10, vcc
	v_mul_lo_u32 v9, s0, v8
	v_mul_hi_u32 v10, s0, v3
	v_add_u32_e32 v9, v10, v9
	v_mul_lo_u32 v10, s1, v3
	v_add_u32_e32 v9, v9, v10
	v_mul_lo_u32 v11, s0, v3
	v_mul_hi_u32 v13, v8, v11
	v_mul_lo_u32 v14, v8, v11
	v_mul_lo_u32 v16, v3, v9
	v_mul_hi_u32 v11, v3, v11
	v_mul_hi_u32 v15, v3, v9
	v_add_co_u32_e32 v11, vcc, v11, v16
	v_addc_co_u32_e32 v15, vcc, 0, v15, vcc
	v_add_co_u32_e32 v11, vcc, v11, v14
	v_mul_hi_u32 v10, v8, v9
	v_addc_co_u32_e32 v11, vcc, v15, v13, vcc
	v_addc_co_u32_e32 v10, vcc, 0, v10, vcc
	v_mul_lo_u32 v9, v8, v9
	v_add_co_u32_e32 v9, vcc, v11, v9
	v_addc_co_u32_e32 v10, vcc, 0, v10, vcc
	v_add_co_u32_e32 v3, vcc, v3, v9
	v_addc_co_u32_e32 v10, vcc, v8, v10, vcc
	;; [unrolled: 2-line block ×3, first 2 shown]
	v_xor_b32_e32 v14, v8, v12
	v_xor_b32_e32 v13, v9, v12
	v_mad_u64_u32 v[8:9], s[0:1], v14, v10, 0
	v_mul_hi_u32 v11, v14, v3
	v_add_co_u32_e32 v15, vcc, v11, v8
	v_addc_co_u32_e32 v16, vcc, 0, v9, vcc
	v_mad_u64_u32 v[8:9], s[0:1], v13, v10, 0
	v_mad_u64_u32 v[10:11], s[0:1], v13, v3, 0
	v_add_co_u32_e32 v3, vcc, v15, v10
	v_addc_co_u32_e32 v3, vcc, v16, v11, vcc
	v_addc_co_u32_e32 v9, vcc, 0, v9, vcc
	v_add_co_u32_e32 v3, vcc, v3, v8
	v_addc_co_u32_e32 v10, vcc, 0, v9, vcc
	v_mul_lo_u32 v11, s47, v3
	v_mul_lo_u32 v15, s46, v10
	v_mad_u64_u32 v[8:9], s[0:1], s46, v3, 0
	v_add3_u32 v9, v9, v15, v11
	v_sub_u32_e32 v11, v13, v9
	v_mov_b32_e32 v15, s47
	v_sub_co_u32_e32 v8, vcc, v14, v8
	v_subb_co_u32_e64 v11, s[0:1], v11, v15, vcc
	v_subrev_co_u32_e64 v14, s[0:1], s46, v8
	v_subbrev_co_u32_e64 v11, s[0:1], 0, v11, s[0:1]
	v_cmp_le_u32_e64 s[0:1], s47, v11
	v_cndmask_b32_e64 v15, 0, -1, s[0:1]
	v_cmp_le_u32_e64 s[0:1], s46, v14
	v_cndmask_b32_e64 v14, 0, -1, s[0:1]
	v_cmp_eq_u32_e64 s[0:1], s47, v11
	v_cndmask_b32_e64 v11, v15, v14, s[0:1]
	v_add_co_u32_e64 v14, s[0:1], 2, v3
	v_subb_co_u32_e32 v9, vcc, v13, v9, vcc
	v_addc_co_u32_e64 v15, s[0:1], 0, v10, s[0:1]
	v_cmp_le_u32_e32 vcc, s47, v9
	v_add_co_u32_e64 v16, s[0:1], 1, v3
	v_cndmask_b32_e64 v13, 0, -1, vcc
	v_cmp_le_u32_e32 vcc, s46, v8
	v_addc_co_u32_e64 v17, s[0:1], 0, v10, s[0:1]
	v_cndmask_b32_e64 v8, 0, -1, vcc
	v_cmp_eq_u32_e32 vcc, s47, v9
	v_cmp_ne_u32_e64 s[0:1], 0, v11
	v_cndmask_b32_e32 v8, v13, v8, vcc
	v_cmp_ne_u32_e32 vcc, 0, v8
	v_cndmask_b32_e64 v9, v16, v14, s[0:1]
	v_cndmask_b32_e64 v11, v17, v15, s[0:1]
	v_cndmask_b32_e32 v3, v3, v9, vcc
	v_xor_b32_e32 v9, s44, v12
	v_cndmask_b32_e32 v8, v10, v11, vcc
	v_xor_b32_e32 v3, v3, v9
	v_xor_b32_e32 v10, v8, v9
	v_sub_co_u32_e32 v8, vcc, v3, v9
	v_subb_co_u32_e32 v9, vcc, v10, v9, vcc
.LBB17_6:                               ;   in Loop: Header=BB17_4 Depth=1
	s_andn2_saveexec_b64 s[0:1], s[2:3]
	s_cbranch_execz .LBB17_8
; %bb.7:                                ;   in Loop: Header=BB17_4 Depth=1
	v_cvt_f32_u32_e32 v3, s56
	s_sub_i32 s2, 0, s56
	v_rcp_iflag_f32_e32 v3, v3
	v_mul_f32_e32 v3, 0x4f7ffffe, v3
	v_cvt_u32_f32_e32 v3, v3
	v_mul_lo_u32 v8, s2, v3
	v_mul_hi_u32 v8, v3, v8
	v_add_u32_e32 v3, v3, v8
	v_mul_hi_u32 v3, v0, v3
	v_mul_lo_u32 v8, v3, s56
	v_sub_u32_e32 v8, v0, v8
	v_add_u32_e32 v9, 1, v3
	v_subrev_u32_e32 v10, s56, v8
	v_cmp_le_u32_e32 vcc, s56, v8
	v_cndmask_b32_e32 v8, v8, v10, vcc
	v_cndmask_b32_e32 v3, v3, v9, vcc
	v_add_u32_e32 v9, 1, v3
	v_cmp_le_u32_e32 vcc, s56, v8
	v_cndmask_b32_e32 v8, v3, v9, vcc
	v_mov_b32_e32 v9, v2
.LBB17_8:                               ;   in Loop: Header=BB17_4 Depth=1
	s_or_b64 exec, exec, s[0:1]
	v_or_b32_e32 v3, s33, v1
	v_cmp_ne_u64_e32 vcc, 0, v[2:3]
                                        ; implicit-def: $vgpr10_vgpr11
	s_and_saveexec_b64 s[0:1], vcc
	s_xor_b64 s[2:3], exec, s[0:1]
	s_cbranch_execz .LBB17_10
; %bb.9:                                ;   in Loop: Header=BB17_4 Depth=1
	s_ashr_i32 s44, s33, 31
	s_add_u32 s0, s52, s44
	s_mov_b32 s45, s44
	s_addc_u32 s1, s33, s44
	s_xor_b64 s[46:47], s[0:1], s[44:45]
	v_cvt_f32_u32_e32 v3, s46
	v_cvt_f32_u32_e32 v10, s47
	s_sub_u32 s0, 0, s46
	s_subb_u32 s1, 0, s47
	v_mac_f32_e32 v3, 0x4f800000, v10
	v_rcp_f32_e32 v3, v3
	v_mul_f32_e32 v3, 0x5f7ffffc, v3
	v_mul_f32_e32 v10, 0x2f800000, v3
	v_trunc_f32_e32 v10, v10
	v_mac_f32_e32 v3, 0xcf800000, v10
	v_cvt_u32_f32_e32 v10, v10
	v_cvt_u32_f32_e32 v3, v3
	v_mul_lo_u32 v11, s0, v10
	v_mul_hi_u32 v14, s0, v3
	v_mul_lo_u32 v13, s1, v3
	v_add_u32_e32 v11, v14, v11
	v_mul_lo_u32 v15, s0, v3
	v_add_u32_e32 v11, v11, v13
	v_mul_lo_u32 v14, v3, v11
	v_mul_hi_u32 v16, v3, v15
	v_mul_hi_u32 v13, v3, v11
	v_add_co_u32_e32 v14, vcc, v16, v14
	v_addc_co_u32_e32 v13, vcc, 0, v13, vcc
	v_mul_hi_u32 v17, v10, v15
	v_mul_lo_u32 v15, v10, v15
	v_add_co_u32_e32 v14, vcc, v14, v15
	v_mul_hi_u32 v16, v10, v11
	v_addc_co_u32_e32 v13, vcc, v13, v17, vcc
	v_addc_co_u32_e32 v14, vcc, 0, v16, vcc
	v_mul_lo_u32 v11, v10, v11
	v_add_co_u32_e32 v11, vcc, v13, v11
	v_addc_co_u32_e32 v13, vcc, 0, v14, vcc
	v_add_co_u32_e32 v3, vcc, v3, v11
	v_addc_co_u32_e32 v10, vcc, v10, v13, vcc
	v_mul_lo_u32 v11, s0, v10
	v_mul_hi_u32 v13, s0, v3
	v_add_u32_e32 v11, v13, v11
	v_mul_lo_u32 v13, s1, v3
	v_add_u32_e32 v11, v11, v13
	v_mul_lo_u32 v14, s0, v3
	v_mul_hi_u32 v15, v10, v14
	v_mul_lo_u32 v16, v10, v14
	v_mul_lo_u32 v18, v3, v11
	v_mul_hi_u32 v14, v3, v14
	v_mul_hi_u32 v17, v3, v11
	v_add_co_u32_e32 v14, vcc, v14, v18
	v_addc_co_u32_e32 v17, vcc, 0, v17, vcc
	v_add_co_u32_e32 v14, vcc, v14, v16
	v_mul_hi_u32 v13, v10, v11
	v_addc_co_u32_e32 v14, vcc, v17, v15, vcc
	v_addc_co_u32_e32 v13, vcc, 0, v13, vcc
	v_mul_lo_u32 v11, v10, v11
	v_add_co_u32_e32 v11, vcc, v14, v11
	v_addc_co_u32_e32 v13, vcc, 0, v13, vcc
	v_add_co_u32_e32 v3, vcc, v3, v11
	v_addc_co_u32_e32 v13, vcc, v10, v13, vcc
	;; [unrolled: 2-line block ×3, first 2 shown]
	v_xor_b32_e32 v17, v10, v12
	v_xor_b32_e32 v16, v11, v12
	v_mad_u64_u32 v[10:11], s[0:1], v17, v13, 0
	v_mul_hi_u32 v14, v17, v3
	v_add_co_u32_e32 v18, vcc, v14, v10
	v_addc_co_u32_e32 v19, vcc, 0, v11, vcc
	v_mad_u64_u32 v[14:15], s[0:1], v16, v3, 0
	v_add_co_u32_e32 v3, vcc, v18, v14
	v_mad_u64_u32 v[10:11], s[0:1], v16, v13, 0
	v_addc_co_u32_e32 v3, vcc, v19, v15, vcc
	v_addc_co_u32_e32 v11, vcc, 0, v11, vcc
	v_add_co_u32_e32 v3, vcc, v3, v10
	v_addc_co_u32_e32 v13, vcc, 0, v11, vcc
	v_mul_lo_u32 v14, s47, v3
	v_mul_lo_u32 v15, s46, v13
	v_mad_u64_u32 v[10:11], s[0:1], s46, v3, 0
	v_add3_u32 v11, v11, v15, v14
	v_sub_u32_e32 v14, v16, v11
	v_mov_b32_e32 v15, s47
	v_sub_co_u32_e32 v10, vcc, v17, v10
	v_subb_co_u32_e64 v14, s[0:1], v14, v15, vcc
	v_subrev_co_u32_e64 v15, s[0:1], s46, v10
	v_subbrev_co_u32_e64 v14, s[0:1], 0, v14, s[0:1]
	v_cmp_le_u32_e64 s[0:1], s47, v14
	v_cndmask_b32_e64 v17, 0, -1, s[0:1]
	v_cmp_le_u32_e64 s[0:1], s46, v15
	v_cndmask_b32_e64 v15, 0, -1, s[0:1]
	v_cmp_eq_u32_e64 s[0:1], s47, v14
	v_cndmask_b32_e64 v14, v17, v15, s[0:1]
	v_add_co_u32_e64 v15, s[0:1], 2, v3
	v_subb_co_u32_e32 v11, vcc, v16, v11, vcc
	v_addc_co_u32_e64 v17, s[0:1], 0, v13, s[0:1]
	v_cmp_le_u32_e32 vcc, s47, v11
	v_add_co_u32_e64 v18, s[0:1], 1, v3
	v_cndmask_b32_e64 v16, 0, -1, vcc
	v_cmp_le_u32_e32 vcc, s46, v10
	v_addc_co_u32_e64 v19, s[0:1], 0, v13, s[0:1]
	v_cndmask_b32_e64 v10, 0, -1, vcc
	v_cmp_eq_u32_e32 vcc, s47, v11
	v_cmp_ne_u32_e64 s[0:1], 0, v14
	v_cndmask_b32_e32 v10, v16, v10, vcc
	v_cmp_ne_u32_e32 vcc, 0, v10
	v_cndmask_b32_e64 v11, v18, v15, s[0:1]
	v_cndmask_b32_e64 v14, v19, v17, s[0:1]
	v_cndmask_b32_e32 v3, v3, v11, vcc
	v_xor_b32_e32 v11, s44, v12
	v_cndmask_b32_e32 v10, v13, v14, vcc
	v_xor_b32_e32 v3, v3, v11
	v_xor_b32_e32 v12, v10, v11
	v_sub_co_u32_e32 v10, vcc, v3, v11
	v_subb_co_u32_e32 v11, vcc, v12, v11, vcc
.LBB17_10:                              ;   in Loop: Header=BB17_4 Depth=1
	s_andn2_saveexec_b64 s[0:1], s[2:3]
	s_cbranch_execz .LBB17_12
; %bb.11:                               ;   in Loop: Header=BB17_4 Depth=1
	v_cvt_f32_u32_e32 v3, s52
	s_sub_i32 s2, 0, s52
	v_rcp_iflag_f32_e32 v3, v3
	v_mul_f32_e32 v3, 0x4f7ffffe, v3
	v_cvt_u32_f32_e32 v3, v3
	v_mul_lo_u32 v10, s2, v3
	v_mul_hi_u32 v10, v3, v10
	v_add_u32_e32 v3, v3, v10
	v_mul_hi_u32 v3, v0, v3
	v_mul_lo_u32 v10, v3, s52
	v_sub_u32_e32 v10, v0, v10
	v_add_u32_e32 v11, 1, v3
	v_subrev_u32_e32 v12, s52, v10
	v_cmp_le_u32_e32 vcc, s52, v10
	v_cndmask_b32_e32 v10, v10, v12, vcc
	v_cndmask_b32_e32 v3, v3, v11, vcc
	v_add_u32_e32 v11, 1, v3
	v_cmp_le_u32_e32 vcc, s52, v10
	v_cndmask_b32_e32 v10, v3, v11, vcc
	v_mov_b32_e32 v11, v2
.LBB17_12:                              ;   in Loop: Header=BB17_4 Depth=1
	s_or_b64 exec, exec, s[0:1]
	v_or_b32_e32 v3, s7, v11
	v_cmp_ne_u64_e32 vcc, 0, v[2:3]
                                        ; implicit-def: $vgpr12_vgpr13
	s_and_saveexec_b64 s[0:1], vcc
	s_xor_b64 s[44:45], exec, s[0:1]
	s_cbranch_execz .LBB17_14
; %bb.13:                               ;   in Loop: Header=BB17_4 Depth=1
	s_add_u32 s2, s6, s7
	s_mov_b32 s0, s7
	s_mov_b32 s1, s7
	s_addc_u32 s3, s7, s7
	s_xor_b64 s[46:47], s[2:3], s[0:1]
	v_cvt_f32_u32_e32 v3, s46
	v_cvt_f32_u32_e32 v12, s47
	s_sub_u32 s0, 0, s46
	s_subb_u32 s1, 0, s47
	v_mac_f32_e32 v3, 0x4f800000, v12
	v_rcp_f32_e32 v3, v3
	v_mul_f32_e32 v3, 0x5f7ffffc, v3
	v_mul_f32_e32 v12, 0x2f800000, v3
	v_trunc_f32_e32 v12, v12
	v_mac_f32_e32 v3, 0xcf800000, v12
	v_cvt_u32_f32_e32 v12, v12
	v_cvt_u32_f32_e32 v3, v3
	v_mul_lo_u32 v13, s0, v12
	v_mul_hi_u32 v15, s0, v3
	v_mul_lo_u32 v14, s1, v3
	v_add_u32_e32 v13, v15, v13
	v_mul_lo_u32 v16, s0, v3
	v_add_u32_e32 v13, v13, v14
	v_mul_lo_u32 v15, v3, v13
	v_mul_hi_u32 v17, v3, v16
	v_mul_hi_u32 v14, v3, v13
	v_add_co_u32_e32 v15, vcc, v17, v15
	v_addc_co_u32_e32 v14, vcc, 0, v14, vcc
	v_mul_hi_u32 v18, v12, v16
	v_mul_lo_u32 v16, v12, v16
	v_add_co_u32_e32 v15, vcc, v15, v16
	v_mul_hi_u32 v17, v12, v13
	v_addc_co_u32_e32 v14, vcc, v14, v18, vcc
	v_addc_co_u32_e32 v15, vcc, 0, v17, vcc
	v_mul_lo_u32 v13, v12, v13
	v_add_co_u32_e32 v13, vcc, v14, v13
	v_addc_co_u32_e32 v14, vcc, 0, v15, vcc
	v_add_co_u32_e32 v3, vcc, v3, v13
	v_addc_co_u32_e32 v12, vcc, v12, v14, vcc
	v_mul_lo_u32 v13, s0, v12
	v_mul_hi_u32 v14, s0, v3
	v_add_u32_e32 v13, v14, v13
	v_mul_lo_u32 v14, s1, v3
	v_add_u32_e32 v13, v13, v14
	v_mul_lo_u32 v15, s0, v3
	v_mul_hi_u32 v16, v12, v15
	v_mul_lo_u32 v17, v12, v15
	v_mul_lo_u32 v19, v3, v13
	v_mul_hi_u32 v15, v3, v15
	v_mul_hi_u32 v18, v3, v13
	v_add_co_u32_e32 v15, vcc, v15, v19
	v_addc_co_u32_e32 v18, vcc, 0, v18, vcc
	v_add_co_u32_e32 v15, vcc, v15, v17
	v_mul_hi_u32 v14, v12, v13
	v_addc_co_u32_e32 v15, vcc, v18, v16, vcc
	v_addc_co_u32_e32 v14, vcc, 0, v14, vcc
	v_mul_lo_u32 v13, v12, v13
	v_add_co_u32_e32 v13, vcc, v15, v13
	v_addc_co_u32_e32 v14, vcc, 0, v14, vcc
	v_add_co_u32_e32 v3, vcc, v3, v13
	v_addc_co_u32_e32 v14, vcc, v12, v14, vcc
	v_ashrrev_i32_e32 v16, 31, v11
	v_add_co_u32_e32 v12, vcc, v10, v16
	v_addc_co_u32_e32 v13, vcc, v11, v16, vcc
	v_xor_b32_e32 v18, v12, v16
	v_xor_b32_e32 v17, v13, v16
	v_mad_u64_u32 v[12:13], s[0:1], v18, v14, 0
	v_mul_hi_u32 v15, v18, v3
	v_add_co_u32_e32 v19, vcc, v15, v12
	v_addc_co_u32_e32 v20, vcc, 0, v13, vcc
	v_mad_u64_u32 v[12:13], s[0:1], v17, v14, 0
	v_mad_u64_u32 v[14:15], s[0:1], v17, v3, 0
	v_add_co_u32_e32 v3, vcc, v19, v14
	v_addc_co_u32_e32 v3, vcc, v20, v15, vcc
	v_addc_co_u32_e32 v13, vcc, 0, v13, vcc
	v_add_co_u32_e32 v3, vcc, v3, v12
	v_addc_co_u32_e32 v12, vcc, 0, v13, vcc
	v_mul_lo_u32 v14, s47, v3
	v_mul_lo_u32 v15, s46, v12
	v_mad_u64_u32 v[12:13], s[0:1], s46, v3, 0
	v_add3_u32 v3, v13, v15, v14
	v_sub_u32_e32 v13, v17, v3
	v_mov_b32_e32 v14, s47
	v_sub_co_u32_e32 v12, vcc, v18, v12
	v_subb_co_u32_e64 v13, s[0:1], v13, v14, vcc
	v_subrev_co_u32_e64 v15, s[0:1], s46, v12
	v_subbrev_co_u32_e64 v18, s[2:3], 0, v13, s[0:1]
	v_cmp_le_u32_e64 s[2:3], s47, v18
	v_cndmask_b32_e64 v19, 0, -1, s[2:3]
	v_cmp_le_u32_e64 s[2:3], s46, v15
	v_subb_co_u32_e64 v13, s[0:1], v13, v14, s[0:1]
	v_cndmask_b32_e64 v20, 0, -1, s[2:3]
	v_cmp_eq_u32_e64 s[2:3], s47, v18
	v_subrev_co_u32_e64 v14, s[0:1], s46, v15
	v_subb_co_u32_e32 v3, vcc, v17, v3, vcc
	v_cndmask_b32_e64 v19, v19, v20, s[2:3]
	v_subbrev_co_u32_e64 v13, s[0:1], 0, v13, s[0:1]
	v_cmp_le_u32_e32 vcc, s47, v3
	v_cmp_ne_u32_e64 s[0:1], 0, v19
	v_cndmask_b32_e64 v17, 0, -1, vcc
	v_cmp_le_u32_e32 vcc, s46, v12
	v_cndmask_b32_e64 v13, v18, v13, s[0:1]
	v_cndmask_b32_e64 v18, 0, -1, vcc
	v_cmp_eq_u32_e32 vcc, s47, v3
	v_cndmask_b32_e32 v17, v17, v18, vcc
	v_cmp_ne_u32_e32 vcc, 0, v17
	v_cndmask_b32_e32 v3, v3, v13, vcc
	v_cndmask_b32_e64 v13, v15, v14, s[0:1]
	v_cndmask_b32_e32 v12, v12, v13, vcc
	v_xor_b32_e32 v12, v12, v16
	v_xor_b32_e32 v3, v3, v16
	v_sub_co_u32_e32 v12, vcc, v12, v16
	v_subb_co_u32_e32 v13, vcc, v3, v16, vcc
.LBB17_14:                              ;   in Loop: Header=BB17_4 Depth=1
	s_andn2_saveexec_b64 s[0:1], s[44:45]
	s_cbranch_execz .LBB17_16
; %bb.15:                               ;   in Loop: Header=BB17_4 Depth=1
	v_cvt_f32_u32_e32 v3, s6
	s_sub_i32 s2, 0, s6
	v_mov_b32_e32 v13, v2
	v_rcp_iflag_f32_e32 v3, v3
	v_mul_f32_e32 v3, 0x4f7ffffe, v3
	v_cvt_u32_f32_e32 v3, v3
	v_mul_lo_u32 v12, s2, v3
	v_mul_hi_u32 v12, v3, v12
	v_add_u32_e32 v3, v3, v12
	v_mul_hi_u32 v3, v10, v3
	v_mul_lo_u32 v3, v3, s6
	v_sub_u32_e32 v3, v10, v3
	v_subrev_u32_e32 v12, s6, v3
	v_cmp_le_u32_e32 vcc, s6, v3
	v_cndmask_b32_e32 v3, v3, v12, vcc
	v_subrev_u32_e32 v12, s6, v3
	v_cmp_le_u32_e32 vcc, s6, v3
	v_cndmask_b32_e32 v12, v3, v12, vcc
.LBB17_16:                              ;   in Loop: Header=BB17_4 Depth=1
	s_or_b64 exec, exec, s[0:1]
	v_mad_u64_u32 v[14:15], s[0:1], s69, v10, v[0:1]
	v_mul_lo_u32 v3, s69, v11
	v_mul_lo_u32 v16, s70, v10
	v_add3_u32 v15, v16, v15, v3
	v_or_b32_e32 v3, s13, v15
	v_cmp_ne_u64_e32 vcc, 0, v[2:3]
                                        ; implicit-def: $vgpr16_vgpr17
	s_and_saveexec_b64 s[0:1], vcc
	s_xor_b64 s[2:3], exec, s[0:1]
	s_cbranch_execz .LBB17_18
; %bb.17:                               ;   in Loop: Header=BB17_4 Depth=1
	s_ashr_i32 s44, s13, 31
	s_add_u32 s0, s12, s44
	s_mov_b32 s45, s44
	s_addc_u32 s1, s13, s44
	s_xor_b64 s[46:47], s[0:1], s[44:45]
	v_cvt_f32_u32_e32 v3, s46
	v_cvt_f32_u32_e32 v16, s47
	s_sub_u32 s0, 0, s46
	s_subb_u32 s1, 0, s47
	v_mac_f32_e32 v3, 0x4f800000, v16
	v_rcp_f32_e32 v3, v3
	v_mul_f32_e32 v3, 0x5f7ffffc, v3
	v_mul_f32_e32 v16, 0x2f800000, v3
	v_trunc_f32_e32 v16, v16
	v_mac_f32_e32 v3, 0xcf800000, v16
	v_cvt_u32_f32_e32 v16, v16
	v_cvt_u32_f32_e32 v3, v3
	v_mul_lo_u32 v17, s0, v16
	v_mul_hi_u32 v19, s0, v3
	v_mul_lo_u32 v18, s1, v3
	v_add_u32_e32 v17, v19, v17
	v_mul_lo_u32 v20, s0, v3
	v_add_u32_e32 v17, v17, v18
	v_mul_lo_u32 v19, v3, v17
	v_mul_hi_u32 v21, v3, v20
	v_mul_hi_u32 v18, v3, v17
	v_add_co_u32_e32 v19, vcc, v21, v19
	v_addc_co_u32_e32 v18, vcc, 0, v18, vcc
	v_mul_hi_u32 v22, v16, v20
	v_mul_lo_u32 v20, v16, v20
	v_add_co_u32_e32 v19, vcc, v19, v20
	v_mul_hi_u32 v21, v16, v17
	v_addc_co_u32_e32 v18, vcc, v18, v22, vcc
	v_addc_co_u32_e32 v19, vcc, 0, v21, vcc
	v_mul_lo_u32 v17, v16, v17
	v_add_co_u32_e32 v17, vcc, v18, v17
	v_addc_co_u32_e32 v18, vcc, 0, v19, vcc
	v_add_co_u32_e32 v3, vcc, v3, v17
	v_addc_co_u32_e32 v16, vcc, v16, v18, vcc
	v_mul_lo_u32 v17, s0, v16
	v_mul_hi_u32 v18, s0, v3
	v_add_u32_e32 v17, v18, v17
	v_mul_lo_u32 v18, s1, v3
	v_add_u32_e32 v17, v17, v18
	v_mul_lo_u32 v19, s0, v3
	v_mul_hi_u32 v20, v16, v19
	v_mul_lo_u32 v21, v16, v19
	v_mul_lo_u32 v23, v3, v17
	v_mul_hi_u32 v19, v3, v19
	v_mul_hi_u32 v22, v3, v17
	v_add_co_u32_e32 v19, vcc, v19, v23
	v_addc_co_u32_e32 v22, vcc, 0, v22, vcc
	v_add_co_u32_e32 v19, vcc, v19, v21
	v_mul_hi_u32 v18, v16, v17
	v_addc_co_u32_e32 v19, vcc, v22, v20, vcc
	v_addc_co_u32_e32 v18, vcc, 0, v18, vcc
	v_mul_lo_u32 v17, v16, v17
	v_add_co_u32_e32 v17, vcc, v19, v17
	v_addc_co_u32_e32 v18, vcc, 0, v18, vcc
	v_add_co_u32_e32 v3, vcc, v3, v17
	v_addc_co_u32_e32 v16, vcc, v16, v18, vcc
	v_ashrrev_i32_e32 v18, 31, v15
	v_add_co_u32_e32 v14, vcc, v14, v18
	v_addc_co_u32_e32 v15, vcc, v15, v18, vcc
	v_xor_b32_e32 v20, v14, v18
	v_xor_b32_e32 v19, v15, v18
	v_mad_u64_u32 v[14:15], s[0:1], v20, v16, 0
	v_mul_hi_u32 v17, v20, v3
	v_add_co_u32_e32 v21, vcc, v17, v14
	v_addc_co_u32_e32 v22, vcc, 0, v15, vcc
	v_mad_u64_u32 v[14:15], s[0:1], v19, v16, 0
	v_mad_u64_u32 v[16:17], s[0:1], v19, v3, 0
	v_add_co_u32_e32 v3, vcc, v21, v16
	v_addc_co_u32_e32 v3, vcc, v22, v17, vcc
	v_addc_co_u32_e32 v15, vcc, 0, v15, vcc
	v_add_co_u32_e32 v3, vcc, v3, v14
	v_addc_co_u32_e32 v16, vcc, 0, v15, vcc
	v_mul_lo_u32 v17, s47, v3
	v_mul_lo_u32 v21, s46, v16
	v_mad_u64_u32 v[14:15], s[0:1], s46, v3, 0
	v_add3_u32 v15, v15, v21, v17
	v_sub_u32_e32 v17, v19, v15
	v_mov_b32_e32 v21, s47
	v_sub_co_u32_e32 v14, vcc, v20, v14
	v_subb_co_u32_e64 v17, s[0:1], v17, v21, vcc
	v_subrev_co_u32_e64 v20, s[0:1], s46, v14
	v_subbrev_co_u32_e64 v17, s[0:1], 0, v17, s[0:1]
	v_cmp_le_u32_e64 s[0:1], s47, v17
	v_cndmask_b32_e64 v21, 0, -1, s[0:1]
	v_cmp_le_u32_e64 s[0:1], s46, v20
	v_cndmask_b32_e64 v20, 0, -1, s[0:1]
	v_cmp_eq_u32_e64 s[0:1], s47, v17
	v_cndmask_b32_e64 v17, v21, v20, s[0:1]
	v_add_co_u32_e64 v20, s[0:1], 2, v3
	v_subb_co_u32_e32 v15, vcc, v19, v15, vcc
	v_addc_co_u32_e64 v21, s[0:1], 0, v16, s[0:1]
	v_cmp_le_u32_e32 vcc, s47, v15
	v_add_co_u32_e64 v22, s[0:1], 1, v3
	v_cndmask_b32_e64 v19, 0, -1, vcc
	v_cmp_le_u32_e32 vcc, s46, v14
	v_addc_co_u32_e64 v23, s[0:1], 0, v16, s[0:1]
	v_cndmask_b32_e64 v14, 0, -1, vcc
	v_cmp_eq_u32_e32 vcc, s47, v15
	v_cmp_ne_u32_e64 s[0:1], 0, v17
	v_cndmask_b32_e32 v14, v19, v14, vcc
	v_cmp_ne_u32_e32 vcc, 0, v14
	v_cndmask_b32_e64 v15, v22, v20, s[0:1]
	v_cndmask_b32_e64 v17, v23, v21, s[0:1]
	v_cndmask_b32_e32 v3, v3, v15, vcc
	v_xor_b32_e32 v15, s44, v18
	v_cndmask_b32_e32 v14, v16, v17, vcc
	v_xor_b32_e32 v3, v3, v15
	v_xor_b32_e32 v14, v14, v15
	v_sub_co_u32_e32 v16, vcc, v3, v15
	v_subb_co_u32_e32 v17, vcc, v14, v15, vcc
                                        ; implicit-def: $vgpr14_vgpr15
.LBB17_18:                              ;   in Loop: Header=BB17_4 Depth=1
	s_andn2_saveexec_b64 s[0:1], s[2:3]
	s_cbranch_execz .LBB17_20
; %bb.19:                               ;   in Loop: Header=BB17_4 Depth=1
	v_cvt_f32_u32_e32 v3, s12
	s_sub_i32 s2, 0, s12
	v_mov_b32_e32 v17, v2
	v_rcp_iflag_f32_e32 v3, v3
	v_mul_f32_e32 v3, 0x4f7ffffe, v3
	v_cvt_u32_f32_e32 v3, v3
	v_mul_lo_u32 v15, s2, v3
	v_mul_hi_u32 v15, v3, v15
	v_add_u32_e32 v3, v3, v15
	v_mul_hi_u32 v3, v14, v3
	v_mul_lo_u32 v15, v3, s12
	v_sub_u32_e32 v14, v14, v15
	v_add_u32_e32 v16, 1, v3
	v_subrev_u32_e32 v15, s12, v14
	v_cmp_le_u32_e32 vcc, s12, v14
	v_cndmask_b32_e32 v14, v14, v15, vcc
	v_cndmask_b32_e32 v3, v3, v16, vcc
	v_add_u32_e32 v15, 1, v3
	v_cmp_le_u32_e32 vcc, s12, v14
	v_cndmask_b32_e32 v16, v3, v15, vcc
.LBB17_20:                              ;   in Loop: Header=BB17_4 Depth=1
	s_or_b64 exec, exec, s[0:1]
	v_mul_lo_u32 v3, v11, s52
	v_mul_lo_u32 v18, v10, s33
	v_mad_u64_u32 v[14:15], s[0:1], v10, s52, 0
	v_add3_u32 v3, v15, v18, v3
	v_sub_co_u32_e32 v18, vcc, v0, v14
	v_subb_co_u32_e32 v3, vcc, v1, v3, vcc
	v_mul_lo_u32 v19, v17, s12
	v_mul_lo_u32 v20, v16, s13
	v_mad_u64_u32 v[14:15], s[0:1], v16, s12, 0
	v_add3_u32 v15, v15, v20, v19
	v_sub_co_u32_e32 v25, vcc, v18, v14
	v_subb_co_u32_e32 v26, vcc, v3, v15, vcc
	;; [unrolled: 6-line block ×3, first 2 shown]
	v_mul_lo_u32 v20, s13, v3
	v_mul_lo_u32 v21, s12, v24
	v_mad_u64_u32 v[18:19], s[0:1], s12, v3, 0
	v_mad_u64_u32 v[14:15], s[0:1], s12, v3, v[0:1]
	v_add3_u32 v19, v19, v21, v20
	v_add3_u32 v15, v20, v15, v21
	v_cmp_lt_i64_e32 vcc, 0, v[16:17]
	v_cmp_ge_i64_e64 s[0:1], s[18:19], v[16:17]
	s_and_b64 s[48:49], vcc, s[0:1]
	v_cmp_eq_u64_e32 vcc, v[18:19], v[4:5]
	v_cmp_lt_i64_e64 s[0:1], s[4:5], v[14:15]
	s_or_b64 s[44:45], vcc, s[0:1]
	v_cmp_gt_i64_e32 vcc, s[28:29], v[14:15]
	v_cmp_le_i64_e64 s[0:1], s[30:31], v[14:15]
	s_mov_b32 s43, s42
	s_and_b64 s[2:3], vcc, s[0:1]
	v_pk_mov_b32 v[14:15], s[42:43], s[42:43] op_sel:[0,1]
	s_and_saveexec_b64 s[46:47], s[48:49]
	s_cbranch_execz .LBB17_30
; %bb.21:                               ;   in Loop: Header=BB17_4 Depth=1
	v_mov_b32_e32 v14, s19
	v_sub_co_u32_e32 v22, vcc, s18, v16
	v_subb_co_u32_e32 v14, vcc, v14, v17, vcc
	v_mov_b32_e32 v20, s5
	v_add_co_u32_e32 v21, vcc, s4, v0
	v_mul_lo_u32 v27, v14, s53
	v_mul_lo_u32 v28, v22, s54
	v_mad_u64_u32 v[14:15], s[0:1], v22, s53, v[18:19]
	v_addc_co_u32_e32 v23, vcc, v20, v1, vcc
	v_add3_u32 v15, v27, v15, v28
	v_add_co_u32_e32 v20, vcc, v21, v14
	v_addc_co_u32_e32 v21, vcc, v23, v15, vcc
	v_cmp_gt_i64_e32 vcc, s[20:21], v[20:21]
	v_pk_mov_b32 v[14:15], s[42:43], s[42:43] op_sel:[0,1]
	s_and_saveexec_b64 s[0:1], vcc
	s_cbranch_execz .LBB17_23
; %bb.22:                               ;   in Loop: Header=BB17_4 Depth=1
	v_mul_lo_u32 v23, s57, v8
	v_mul_lo_u32 v29, s58, v9
	v_mad_u64_u32 v[14:15], s[48:49], s58, v8, 0
	v_add3_u32 v15, v15, v29, v23
	v_mul_lo_u32 v23, v13, s20
	v_mul_lo_u32 v29, v12, s21
	v_mad_u64_u32 v[30:31], s[48:49], v12, s20, 0
	v_lshlrev_b64 v[14:15], 3, v[14:15]
	v_add3_u32 v31, v31, v29, v23
	v_mov_b32_e32 v23, s11
	v_add_co_u32_e32 v29, vcc, s10, v14
	v_addc_co_u32_e32 v23, vcc, v23, v15, vcc
	v_lshlrev_b64 v[14:15], 3, v[30:31]
	v_add_co_u32_e32 v29, vcc, v29, v14
	v_addc_co_u32_e32 v23, vcc, v23, v15, vcc
	v_lshlrev_b64 v[14:15], 3, v[20:21]
	v_add_co_u32_e32 v14, vcc, v29, v14
	v_addc_co_u32_e32 v15, vcc, v23, v15, vcc
	global_load_dwordx2 v[14:15], v[14:15], off
	s_waitcnt vmcnt(0)
	v_pk_add_f32 v[14:15], v[14:15], 0 op_sel_hi:[1,0]
.LBB17_23:                              ;   in Loop: Header=BB17_4 Depth=1
	s_or_b64 exec, exec, s[0:1]
	v_mad_u64_u32 v[22:23], s[0:1], v22, s53, 0
	v_add3_u32 v23, v23, v28, v27
	s_mov_b64 s[50:51], 0
                                        ; implicit-def: $vgpr20_vgpr21
	s_and_saveexec_b64 s[0:1], s[44:45]
	s_xor_b64 s[48:49], exec, s[0:1]
	s_cbranch_execz .LBB17_49
; %bb.24:                               ;   in Loop: Header=BB17_4 Depth=1
	s_mov_b64 s[0:1], 0
                                        ; implicit-def: $vgpr20_vgpr21
	s_and_saveexec_b64 s[50:51], s[2:3]
	s_xor_b64 s[50:51], exec, s[50:51]
	s_cbranch_execz .LBB17_26
; %bb.25:                               ;   in Loop: Header=BB17_4 Depth=1
	v_mov_b32_e32 v20, s60
	v_sub_co_u32_e32 v21, vcc, s59, v25
	v_subb_co_u32_e32 v27, vcc, v20, v26, vcc
	v_add_co_u32_e32 v20, vcc, v21, v22
	v_addc_co_u32_e32 v21, vcc, v27, v23, vcc
	v_mad_u64_u32 v[28:29], s[0:1], s14, v10, v[16:17]
	v_mul_lo_u32 v27, s14, v11
	v_mul_lo_u32 v30, s15, v10
	v_add3_u32 v27, v30, v29, v27
	v_add_co_u32_e32 v28, vcc, 2, v28
	v_addc_co_u32_e32 v27, vcc, 0, v27, vcc
	v_mul_lo_u32 v27, s12, v27
	v_mul_lo_u32 v29, s13, v28
	v_mad_u64_u32 v[22:23], s[0:1], s12, v28, v[22:23]
	v_add3_u32 v23, v29, v23, v27
	v_mov_b32_e32 v27, s5
	v_add_co_u32_e32 v28, vcc, s4, v4
	v_addc_co_u32_e32 v27, vcc, v27, v5, vcc
	v_add_co_u32_e32 v22, vcc, v28, v22
	v_addc_co_u32_e32 v23, vcc, v27, v23, vcc
	v_add_co_u32_e32 v22, vcc, -2, v22
	v_addc_co_u32_e32 v23, vcc, -1, v23, vcc
	v_cmp_lt_i64_e32 vcc, -1, v[22:23]
	v_cmp_gt_i64_e64 s[0:1], s[20:21], v[22:23]
	s_and_b64 s[0:1], vcc, s[0:1]
	s_and_b64 s[0:1], s[0:1], exec
.LBB17_26:                              ;   in Loop: Header=BB17_4 Depth=1
	s_or_b64 exec, exec, s[50:51]
	s_and_b64 s[50:51], s[0:1], exec
                                        ; implicit-def: $vgpr22_vgpr23
	s_andn2_saveexec_b64 s[48:49], s[48:49]
	s_cbranch_execnz .LBB17_50
.LBB17_27:                              ;   in Loop: Header=BB17_4 Depth=1
	s_or_b64 exec, exec, s[48:49]
	s_and_saveexec_b64 s[0:1], s[50:51]
	s_cbranch_execz .LBB17_29
.LBB17_28:                              ;   in Loop: Header=BB17_4 Depth=1
	v_mul_lo_u32 v27, s57, v8
	v_mul_lo_u32 v28, s58, v9
	v_mad_u64_u32 v[22:23], s[48:49], s58, v8, 0
	v_add3_u32 v23, v23, v28, v27
	v_mul_lo_u32 v27, v13, s20
	v_mul_lo_u32 v30, v12, s21
	v_mad_u64_u32 v[28:29], s[48:49], v12, s20, 0
	v_lshlrev_b64 v[22:23], 3, v[22:23]
	v_add3_u32 v29, v29, v30, v27
	v_mov_b32_e32 v27, s11
	v_add_co_u32_e32 v30, vcc, s10, v22
	v_addc_co_u32_e32 v27, vcc, v27, v23, vcc
	v_lshlrev_b64 v[22:23], 3, v[28:29]
	v_add_co_u32_e32 v22, vcc, v30, v22
	v_addc_co_u32_e32 v23, vcc, v27, v23, vcc
	v_lshlrev_b64 v[20:21], 3, v[20:21]
	v_add_co_u32_e32 v20, vcc, v22, v20
	v_addc_co_u32_e32 v21, vcc, v23, v21, vcc
	global_load_dwordx2 v[20:21], v[20:21], off
	s_waitcnt vmcnt(0)
	v_pk_add_f32 v[14:15], v[14:15], v[20:21]
.LBB17_29:                              ;   in Loop: Header=BB17_4 Depth=1
	s_or_b64 exec, exec, s[0:1]
.LBB17_30:                              ;   in Loop: Header=BB17_4 Depth=1
	s_or_b64 exec, exec, s[46:47]
	v_cmp_gt_i64_e32 vcc, s[24:25], v[16:17]
	v_cmp_le_i64_e64 s[0:1], s[26:27], v[16:17]
	s_and_b64 s[0:1], vcc, s[0:1]
	s_and_saveexec_b64 s[46:47], s[0:1]
	s_cbranch_execz .LBB17_40
; %bb.31:                               ;   in Loop: Header=BB17_4 Depth=1
	v_mov_b32_e32 v20, s62
	v_sub_co_u32_e32 v22, vcc, s61, v16
	v_subb_co_u32_e32 v20, vcc, v20, v17, vcc
	v_mov_b32_e32 v23, s5
	v_add_co_u32_e32 v29, vcc, s4, v0
	v_mul_lo_u32 v27, s54, v22
	v_mul_lo_u32 v28, s53, v20
	v_mad_u64_u32 v[20:21], s[0:1], s53, v22, v[18:19]
	v_addc_co_u32_e32 v23, vcc, v23, v1, vcc
	v_add3_u32 v21, v27, v21, v28
	v_add_co_u32_e32 v20, vcc, v29, v20
	v_addc_co_u32_e32 v21, vcc, v23, v21, vcc
	v_cmp_lt_i64_e32 vcc, -1, v[20:21]
	v_cmp_gt_i64_e64 s[0:1], s[20:21], v[20:21]
	s_and_b64 s[48:49], vcc, s[0:1]
	s_and_saveexec_b64 s[0:1], s[48:49]
	s_cbranch_execz .LBB17_33
; %bb.32:                               ;   in Loop: Header=BB17_4 Depth=1
	v_mul_lo_u32 v23, s57, v8
	v_mul_lo_u32 v29, s58, v9
	v_mad_u64_u32 v[30:31], s[48:49], s58, v8, 0
	v_add3_u32 v31, v31, v29, v23
	v_mul_lo_u32 v23, v13, s20
	v_mul_lo_u32 v29, v12, s21
	v_mad_u64_u32 v[32:33], s[48:49], v12, s20, 0
	v_lshlrev_b64 v[30:31], 3, v[30:31]
	v_add3_u32 v33, v33, v29, v23
	v_mov_b32_e32 v23, s11
	v_add_co_u32_e32 v29, vcc, s10, v30
	v_addc_co_u32_e32 v23, vcc, v23, v31, vcc
	v_lshlrev_b64 v[30:31], 3, v[32:33]
	v_add_co_u32_e32 v29, vcc, v29, v30
	v_addc_co_u32_e32 v23, vcc, v23, v31, vcc
	v_lshlrev_b64 v[20:21], 3, v[20:21]
	v_add_co_u32_e32 v20, vcc, v29, v20
	v_addc_co_u32_e32 v21, vcc, v23, v21, vcc
	global_load_dwordx2 v[20:21], v[20:21], off
	s_waitcnt vmcnt(0)
	v_pk_add_f32 v[14:15], v[14:15], v[20:21]
.LBB17_33:                              ;   in Loop: Header=BB17_4 Depth=1
	s_or_b64 exec, exec, s[0:1]
	v_mad_u64_u32 v[22:23], s[0:1], s53, v22, 0
	v_add3_u32 v23, v23, v28, v27
	s_mov_b64 s[50:51], 0
                                        ; implicit-def: $vgpr20_vgpr21
	s_and_saveexec_b64 s[0:1], s[44:45]
	s_xor_b64 s[48:49], exec, s[0:1]
	s_cbranch_execz .LBB17_51
; %bb.34:                               ;   in Loop: Header=BB17_4 Depth=1
	s_mov_b64 s[0:1], 0
                                        ; implicit-def: $vgpr20_vgpr21
	s_and_saveexec_b64 s[50:51], s[2:3]
	s_xor_b64 s[50:51], exec, s[50:51]
	s_cbranch_execz .LBB17_36
; %bb.35:                               ;   in Loop: Header=BB17_4 Depth=1
	v_mov_b32_e32 v20, s64
	v_add_co_u32_e32 v21, vcc, s63, v22
	v_addc_co_u32_e32 v27, vcc, v20, v23, vcc
	v_sub_co_u32_e32 v20, vcc, v21, v25
	v_subb_co_u32_e32 v21, vcc, v27, v26, vcc
	v_mad_u64_u32 v[26:27], s[0:1], s14, v10, v[16:17]
	v_mul_lo_u32 v25, s14, v11
	v_mul_lo_u32 v28, s15, v10
	v_add3_u32 v25, v28, v27, v25
	v_add_co_u32_e32 v26, vcc, 2, v26
	v_addc_co_u32_e32 v25, vcc, 0, v25, vcc
	v_mul_lo_u32 v25, s12, v25
	v_mul_lo_u32 v27, s13, v26
	v_mad_u64_u32 v[22:23], s[0:1], s12, v26, v[22:23]
	v_add3_u32 v23, v27, v23, v25
	v_mov_b32_e32 v25, s5
	v_add_co_u32_e32 v26, vcc, s4, v4
	v_addc_co_u32_e32 v25, vcc, v25, v5, vcc
	v_add_co_u32_e32 v22, vcc, v26, v22
	v_addc_co_u32_e32 v23, vcc, v25, v23, vcc
	v_add_co_u32_e32 v22, vcc, -2, v22
	v_addc_co_u32_e32 v23, vcc, -1, v23, vcc
	v_cmp_lt_i64_e32 vcc, -1, v[22:23]
	v_cmp_gt_i64_e64 s[0:1], s[20:21], v[22:23]
	s_and_b64 s[0:1], vcc, s[0:1]
	s_and_b64 s[0:1], s[0:1], exec
.LBB17_36:                              ;   in Loop: Header=BB17_4 Depth=1
	s_or_b64 exec, exec, s[50:51]
	s_and_b64 s[50:51], s[0:1], exec
                                        ; implicit-def: $vgpr22_vgpr23
	s_andn2_saveexec_b64 s[48:49], s[48:49]
	s_cbranch_execnz .LBB17_52
.LBB17_37:                              ;   in Loop: Header=BB17_4 Depth=1
	s_or_b64 exec, exec, s[48:49]
	s_and_saveexec_b64 s[0:1], s[50:51]
	s_cbranch_execz .LBB17_39
.LBB17_38:                              ;   in Loop: Header=BB17_4 Depth=1
	v_mul_lo_u32 v25, s57, v8
	v_mul_lo_u32 v26, s58, v9
	v_mad_u64_u32 v[22:23], s[48:49], s58, v8, 0
	v_add3_u32 v23, v23, v26, v25
	v_mul_lo_u32 v25, v13, s20
	v_mul_lo_u32 v28, v12, s21
	v_mad_u64_u32 v[26:27], s[48:49], v12, s20, 0
	v_lshlrev_b64 v[22:23], 3, v[22:23]
	v_add3_u32 v27, v27, v28, v25
	v_mov_b32_e32 v25, s11
	v_add_co_u32_e32 v28, vcc, s10, v22
	v_addc_co_u32_e32 v25, vcc, v25, v23, vcc
	v_lshlrev_b64 v[22:23], 3, v[26:27]
	v_add_co_u32_e32 v22, vcc, v28, v22
	v_addc_co_u32_e32 v23, vcc, v25, v23, vcc
	v_lshlrev_b64 v[20:21], 3, v[20:21]
	v_add_co_u32_e32 v20, vcc, v22, v20
	v_addc_co_u32_e32 v21, vcc, v23, v21, vcc
	global_load_dwordx2 v[20:21], v[20:21], off
	s_waitcnt vmcnt(0)
	v_pk_add_f32 v[14:15], v[14:15], v[20:21]
.LBB17_39:                              ;   in Loop: Header=BB17_4 Depth=1
	s_or_b64 exec, exec, s[0:1]
.LBB17_40:                              ;   in Loop: Header=BB17_4 Depth=1
	s_or_b64 exec, exec, s[46:47]
                                        ; implicit-def: $vgpr20_vgpr21
	s_and_saveexec_b64 s[0:1], s[44:45]
	s_xor_b64 s[0:1], exec, s[0:1]
	s_cbranch_execz .LBB17_43
; %bb.41:                               ;   in Loop: Header=BB17_4 Depth=1
	v_mov_b32_e32 v18, s19
	v_add_co_u32_e32 v19, vcc, s18, v16
	v_addc_co_u32_e32 v18, vcc, v17, v18, vcc
	v_mul_lo_u32 v18, v18, s53
	v_mul_lo_u32 v22, v19, s54
	v_mad_u64_u32 v[20:21], s[44:45], v19, s53, 0
	v_add3_u32 v21, v21, v22, v18
                                        ; implicit-def: $vgpr18_vgpr19
	s_andn2_saveexec_b64 s[44:45], s[0:1]
	s_cbranch_execnz .LBB17_44
.LBB17_42:                              ;   in Loop: Header=BB17_4 Depth=1
	s_or_b64 exec, exec, s[44:45]
	s_and_saveexec_b64 s[44:45], s[2:3]
	s_cbranch_execz .LBB17_3
	s_branch .LBB17_47
.LBB17_43:                              ;   in Loop: Header=BB17_4 Depth=1
	s_andn2_saveexec_b64 s[44:45], s[0:1]
	s_cbranch_execz .LBB17_42
.LBB17_44:                              ;   in Loop: Header=BB17_4 Depth=1
	v_mov_b32_e32 v20, s19
	v_add_co_u32_e32 v21, vcc, s18, v16
	v_addc_co_u32_e32 v20, vcc, v17, v20, vcc
	v_mul_lo_u32 v22, v20, s53
	v_mul_lo_u32 v23, v21, s54
	v_mad_u64_u32 v[20:21], s[0:1], v21, s53, 0
	v_add3_u32 v21, v21, v23, v22
	v_sub_co_u32_e32 v18, vcc, v20, v18
	v_subb_co_u32_e32 v19, vcc, v21, v19, vcc
	v_mov_b32_e32 v22, s5
	v_add_co_u32_e32 v23, vcc, s4, v4
	v_addc_co_u32_e32 v22, vcc, v22, v5, vcc
	v_add_co_u32_e32 v18, vcc, v23, v18
	v_addc_co_u32_e32 v19, vcc, v22, v19, vcc
	v_cmp_lt_i64_e32 vcc, -1, v[18:19]
	v_cmp_gt_i64_e64 s[0:1], s[20:21], v[18:19]
	s_and_b64 s[46:47], vcc, s[0:1]
	s_and_saveexec_b64 s[0:1], s[46:47]
	s_cbranch_execz .LBB17_46
; %bb.45:                               ;   in Loop: Header=BB17_4 Depth=1
	v_mul_lo_u32 v25, s57, v8
	v_mul_lo_u32 v26, s58, v9
	v_mad_u64_u32 v[22:23], s[46:47], s58, v8, 0
	v_add3_u32 v23, v23, v26, v25
	v_mul_lo_u32 v25, v13, s20
	v_mul_lo_u32 v28, v12, s21
	v_mad_u64_u32 v[26:27], s[46:47], v12, s20, 0
	v_lshlrev_b64 v[22:23], 3, v[22:23]
	v_add3_u32 v27, v27, v28, v25
	v_mov_b32_e32 v25, s11
	v_add_co_u32_e32 v28, vcc, s10, v22
	v_addc_co_u32_e32 v25, vcc, v25, v23, vcc
	v_lshlrev_b64 v[22:23], 3, v[26:27]
	v_add_co_u32_e32 v22, vcc, v28, v22
	v_addc_co_u32_e32 v23, vcc, v25, v23, vcc
	v_lshlrev_b64 v[18:19], 3, v[18:19]
	v_add_co_u32_e32 v18, vcc, v22, v18
	v_addc_co_u32_e32 v19, vcc, v23, v19, vcc
	global_load_dwordx2 v[18:19], v[18:19], off
	s_waitcnt vmcnt(0)
	v_pk_add_f32 v[14:15], v[14:15], v[18:19]
.LBB17_46:                              ;   in Loop: Header=BB17_4 Depth=1
	s_or_b64 exec, exec, s[0:1]
	s_or_b64 exec, exec, s[44:45]
	s_and_saveexec_b64 s[44:45], s[2:3]
	s_cbranch_execz .LBB17_3
.LBB17_47:                              ;   in Loop: Header=BB17_4 Depth=1
	v_mad_u64_u32 v[16:17], s[0:1], s14, v10, v[16:17]
	v_mul_lo_u32 v11, s14, v11
	v_mul_lo_u32 v10, s15, v10
	v_add3_u32 v10, v10, v17, v11
	v_add_co_u32_e32 v11, vcc, 2, v16
	v_addc_co_u32_e32 v10, vcc, 0, v10, vcc
	v_mul_lo_u32 v16, s12, v10
	v_mul_lo_u32 v17, s13, v11
	v_mad_u64_u32 v[10:11], s[0:1], s12, v11, v[20:21]
	v_add3_u32 v11, v17, v11, v16
	v_mov_b32_e32 v16, s5
	v_add_co_u32_e32 v17, vcc, s4, v4
	v_addc_co_u32_e32 v16, vcc, v16, v5, vcc
	v_add_co_u32_e32 v10, vcc, v17, v10
	v_addc_co_u32_e32 v11, vcc, v16, v11, vcc
	v_add_co_u32_e32 v10, vcc, -2, v10
	v_addc_co_u32_e32 v11, vcc, -1, v11, vcc
	v_cmp_lt_i64_e32 vcc, -1, v[10:11]
	v_cmp_gt_i64_e64 s[0:1], s[20:21], v[10:11]
	s_and_b64 s[2:3], vcc, s[0:1]
	s_and_saveexec_b64 s[0:1], s[2:3]
	s_cbranch_execz .LBB17_2
; %bb.48:                               ;   in Loop: Header=BB17_4 Depth=1
	v_mul_lo_u32 v18, s57, v8
	v_mul_lo_u32 v19, s58, v9
	v_mad_u64_u32 v[16:17], s[2:3], s58, v8, 0
	v_add3_u32 v17, v17, v19, v18
	v_mul_lo_u32 v22, v13, s20
	v_mul_lo_u32 v23, v12, s21
	v_mad_u64_u32 v[18:19], s[2:3], v12, s20, 0
	v_lshlrev_b64 v[16:17], 3, v[16:17]
	v_add3_u32 v19, v19, v23, v22
	v_mov_b32_e32 v22, s11
	v_add_co_u32_e32 v23, vcc, s10, v16
	v_addc_co_u32_e32 v22, vcc, v22, v17, vcc
	v_lshlrev_b64 v[16:17], 3, v[18:19]
	v_add_co_u32_e32 v16, vcc, v23, v16
	v_addc_co_u32_e32 v17, vcc, v22, v17, vcc
	v_lshlrev_b64 v[10:11], 3, v[10:11]
	v_add_co_u32_e32 v10, vcc, v16, v10
	v_addc_co_u32_e32 v11, vcc, v17, v11, vcc
	global_load_dwordx2 v[10:11], v[10:11], off
	s_waitcnt vmcnt(0)
	v_pk_add_f32 v[14:15], v[14:15], v[10:11]
	s_branch .LBB17_2
.LBB17_49:                              ;   in Loop: Header=BB17_4 Depth=1
	s_andn2_saveexec_b64 s[48:49], s[48:49]
	s_cbranch_execz .LBB17_27
.LBB17_50:                              ;   in Loop: Header=BB17_4 Depth=1
	v_sub_co_u32_e32 v20, vcc, v22, v18
	v_subb_co_u32_e32 v21, vcc, v23, v19, vcc
	v_mov_b32_e32 v22, s5
	v_add_co_u32_e32 v23, vcc, s4, v4
	v_addc_co_u32_e32 v22, vcc, v22, v5, vcc
	v_add_co_u32_e32 v20, vcc, v23, v20
	v_addc_co_u32_e32 v21, vcc, v22, v21, vcc
	v_cmp_lt_i64_e32 vcc, -1, v[20:21]
	v_cmp_gt_i64_e64 s[0:1], s[20:21], v[20:21]
	s_and_b64 s[0:1], vcc, s[0:1]
	s_andn2_b64 s[50:51], s[50:51], exec
	s_and_b64 s[0:1], s[0:1], exec
	s_or_b64 s[50:51], s[50:51], s[0:1]
	s_or_b64 exec, exec, s[48:49]
	s_and_saveexec_b64 s[0:1], s[50:51]
	s_cbranch_execnz .LBB17_28
	s_branch .LBB17_29
.LBB17_51:                              ;   in Loop: Header=BB17_4 Depth=1
	s_andn2_saveexec_b64 s[48:49], s[48:49]
	s_cbranch_execz .LBB17_37
.LBB17_52:                              ;   in Loop: Header=BB17_4 Depth=1
	v_sub_co_u32_e32 v20, vcc, v22, v18
	v_subb_co_u32_e32 v21, vcc, v23, v19, vcc
	v_mov_b32_e32 v22, s5
	v_add_co_u32_e32 v23, vcc, s4, v4
	v_addc_co_u32_e32 v22, vcc, v22, v5, vcc
	v_add_co_u32_e32 v20, vcc, v23, v20
	v_addc_co_u32_e32 v21, vcc, v22, v21, vcc
	v_cmp_lt_i64_e32 vcc, -1, v[20:21]
	v_cmp_gt_i64_e64 s[0:1], s[20:21], v[20:21]
	s_and_b64 s[0:1], vcc, s[0:1]
	s_andn2_b64 s[50:51], s[50:51], exec
	s_and_b64 s[0:1], s[0:1], exec
	s_or_b64 s[50:51], s[50:51], s[0:1]
	s_or_b64 exec, exec, s[48:49]
	s_and_saveexec_b64 s[0:1], s[50:51]
	s_cbranch_execnz .LBB17_38
	s_branch .LBB17_39
.LBB17_53:
	s_endpgm
	.section	.rodata,"a",@progbits
	.p2align	6, 0x0
	.amdhsa_kernel _ZN2at6native12_GLOBAL__N_140reflection_pad2d_backward_det_out_kernelIN3c107complexIfEEEEvPT_PKS6_lliiiiiii
		.amdhsa_group_segment_fixed_size 0
		.amdhsa_private_segment_fixed_size 0
		.amdhsa_kernarg_size 320
		.amdhsa_user_sgpr_count 6
		.amdhsa_user_sgpr_private_segment_buffer 1
		.amdhsa_user_sgpr_dispatch_ptr 0
		.amdhsa_user_sgpr_queue_ptr 0
		.amdhsa_user_sgpr_kernarg_segment_ptr 1
		.amdhsa_user_sgpr_dispatch_id 0
		.amdhsa_user_sgpr_flat_scratch_init 0
		.amdhsa_user_sgpr_kernarg_preload_length 0
		.amdhsa_user_sgpr_kernarg_preload_offset 0
		.amdhsa_user_sgpr_private_segment_size 0
		.amdhsa_uses_dynamic_stack 0
		.amdhsa_system_sgpr_private_segment_wavefront_offset 0
		.amdhsa_system_sgpr_workgroup_id_x 1
		.amdhsa_system_sgpr_workgroup_id_y 0
		.amdhsa_system_sgpr_workgroup_id_z 0
		.amdhsa_system_sgpr_workgroup_info 0
		.amdhsa_system_vgpr_workitem_id 0
		.amdhsa_next_free_vgpr 34
		.amdhsa_next_free_sgpr 71
		.amdhsa_accum_offset 36
		.amdhsa_reserve_vcc 1
		.amdhsa_reserve_flat_scratch 0
		.amdhsa_float_round_mode_32 0
		.amdhsa_float_round_mode_16_64 0
		.amdhsa_float_denorm_mode_32 3
		.amdhsa_float_denorm_mode_16_64 3
		.amdhsa_dx10_clamp 1
		.amdhsa_ieee_mode 1
		.amdhsa_fp16_overflow 0
		.amdhsa_tg_split 0
		.amdhsa_exception_fp_ieee_invalid_op 0
		.amdhsa_exception_fp_denorm_src 0
		.amdhsa_exception_fp_ieee_div_zero 0
		.amdhsa_exception_fp_ieee_overflow 0
		.amdhsa_exception_fp_ieee_underflow 0
		.amdhsa_exception_fp_ieee_inexact 0
		.amdhsa_exception_int_div_zero 0
	.end_amdhsa_kernel
	.section	.text._ZN2at6native12_GLOBAL__N_140reflection_pad2d_backward_det_out_kernelIN3c107complexIfEEEEvPT_PKS6_lliiiiiii,"axG",@progbits,_ZN2at6native12_GLOBAL__N_140reflection_pad2d_backward_det_out_kernelIN3c107complexIfEEEEvPT_PKS6_lliiiiiii,comdat
.Lfunc_end17:
	.size	_ZN2at6native12_GLOBAL__N_140reflection_pad2d_backward_det_out_kernelIN3c107complexIfEEEEvPT_PKS6_lliiiiiii, .Lfunc_end17-_ZN2at6native12_GLOBAL__N_140reflection_pad2d_backward_det_out_kernelIN3c107complexIfEEEEvPT_PKS6_lliiiiiii
                                        ; -- End function
	.section	.AMDGPU.csdata,"",@progbits
; Kernel info:
; codeLenInByte = 6136
; NumSgprs: 75
; NumVgprs: 34
; NumAgprs: 0
; TotalNumVgprs: 34
; ScratchSize: 0
; MemoryBound: 0
; FloatMode: 240
; IeeeMode: 1
; LDSByteSize: 0 bytes/workgroup (compile time only)
; SGPRBlocks: 9
; VGPRBlocks: 4
; NumSGPRsForWavesPerEU: 75
; NumVGPRsForWavesPerEU: 34
; AccumOffset: 36
; Occupancy: 8
; WaveLimiterHint : 0
; COMPUTE_PGM_RSRC2:SCRATCH_EN: 0
; COMPUTE_PGM_RSRC2:USER_SGPR: 6
; COMPUTE_PGM_RSRC2:TRAP_HANDLER: 0
; COMPUTE_PGM_RSRC2:TGID_X_EN: 1
; COMPUTE_PGM_RSRC2:TGID_Y_EN: 0
; COMPUTE_PGM_RSRC2:TGID_Z_EN: 0
; COMPUTE_PGM_RSRC2:TIDIG_COMP_CNT: 0
; COMPUTE_PGM_RSRC3_GFX90A:ACCUM_OFFSET: 8
; COMPUTE_PGM_RSRC3_GFX90A:TG_SPLIT: 0
	.section	.text._ZN2at6native12_GLOBAL__N_136reflection_pad2d_backward_out_kernelIN3c107complexIfEEEEvPT_PKS6_lliiiiiii,"axG",@progbits,_ZN2at6native12_GLOBAL__N_136reflection_pad2d_backward_out_kernelIN3c107complexIfEEEEvPT_PKS6_lliiiiiii,comdat
	.globl	_ZN2at6native12_GLOBAL__N_136reflection_pad2d_backward_out_kernelIN3c107complexIfEEEEvPT_PKS6_lliiiiiii ; -- Begin function _ZN2at6native12_GLOBAL__N_136reflection_pad2d_backward_out_kernelIN3c107complexIfEEEEvPT_PKS6_lliiiiiii
	.p2align	8
	.type	_ZN2at6native12_GLOBAL__N_136reflection_pad2d_backward_out_kernelIN3c107complexIfEEEEvPT_PKS6_lliiiiiii,@function
_ZN2at6native12_GLOBAL__N_136reflection_pad2d_backward_out_kernelIN3c107complexIfEEEEvPT_PKS6_lliiiiiii: ; @_ZN2at6native12_GLOBAL__N_136reflection_pad2d_backward_out_kernelIN3c107complexIfEEEEvPT_PKS6_lliiiiiii
; %bb.0:
	s_load_dword s9, s[4:5], 0x4c
	s_load_dwordx4 s[0:3], s[4:5], 0x20
	s_load_dwordx8 s[12:19], s[4:5], 0x0
	v_mov_b32_e32 v1, 0
	s_waitcnt lgkmcnt(0)
	s_and_b32 s9, s9, 0xffff
	s_ashr_i32 s11, s2, 31
	s_add_u32 s31, s2, s16
	s_mul_i32 s6, s6, s9
	s_mov_b32 s10, s2
	s_addc_u32 s33, s11, s17
	s_ashr_i32 s2, s3, 31
	v_add_u32_e32 v0, s6, v0
	s_add_u32 s6, s31, s3
	s_addc_u32 s3, s33, s2
	s_ashr_i32 s25, s0, 31
	s_add_u32 s34, s0, s18
	s_mov_b32 s24, s0
	s_addc_u32 s35, s25, s19
	s_ashr_i32 s0, s1, 31
	s_add_u32 s9, s34, s1
	s_addc_u32 s30, s35, s0
	s_mul_i32 s0, s6, s30
	s_mul_hi_u32 s1, s6, s9
	s_add_i32 s0, s1, s0
	s_mul_i32 s1, s3, s9
	s_add_i32 s1, s0, s1
	s_mul_i32 s0, s6, s9
	v_cmp_gt_i64_e32 vcc, s[0:1], v[0:1]
	s_and_saveexec_b64 s[0:1], vcc
	s_cbranch_execz .LBB18_8
; %bb.1:
	s_load_dwordx4 s[20:23], s[4:5], 0x30
	s_mov_b32 s2, 0
	s_cmp_lg_u64 s[2:3], 0
	s_cbranch_scc0 .LBB18_9
; %bb.2:
	s_ashr_i32 s26, s3, 31
	s_add_u32 s0, s6, s26
	s_mov_b32 s27, s26
	s_addc_u32 s1, s3, s26
	s_xor_b64 s[28:29], s[0:1], s[26:27]
	v_cvt_f32_u32_e32 v1, s28
	v_cvt_f32_u32_e32 v2, s29
	s_sub_u32 s0, 0, s28
	s_subb_u32 s1, 0, s29
	v_madmk_f32 v1, v2, 0x4f800000, v1
	v_rcp_f32_e32 v1, v1
	v_mul_f32_e32 v1, 0x5f7ffffc, v1
	v_mul_f32_e32 v2, 0x2f800000, v1
	v_trunc_f32_e32 v2, v2
	v_madmk_f32 v1, v2, 0xcf800000, v1
	v_cvt_u32_f32_e32 v2, v2
	v_cvt_u32_f32_e32 v1, v1
	v_mul_lo_u32 v3, s0, v2
	v_mul_hi_u32 v5, s0, v1
	v_mul_lo_u32 v4, s1, v1
	v_add_u32_e32 v3, v5, v3
	v_add_u32_e32 v3, v3, v4
	v_mul_lo_u32 v6, s0, v1
	v_mul_lo_u32 v5, v1, v3
	v_mul_hi_u32 v7, v1, v6
	v_mul_hi_u32 v4, v1, v3
	v_add_co_u32_e32 v5, vcc, v7, v5
	v_addc_co_u32_e32 v4, vcc, 0, v4, vcc
	v_mul_hi_u32 v8, v2, v6
	v_mul_lo_u32 v6, v2, v6
	v_add_co_u32_e32 v5, vcc, v5, v6
	v_mul_hi_u32 v7, v2, v3
	v_addc_co_u32_e32 v4, vcc, v4, v8, vcc
	v_addc_co_u32_e32 v5, vcc, 0, v7, vcc
	v_mul_lo_u32 v3, v2, v3
	v_add_co_u32_e32 v3, vcc, v4, v3
	v_addc_co_u32_e32 v4, vcc, 0, v5, vcc
	v_add_co_u32_e32 v1, vcc, v1, v3
	v_addc_co_u32_e32 v2, vcc, v2, v4, vcc
	v_mul_lo_u32 v3, s0, v2
	v_mul_hi_u32 v4, s0, v1
	v_add_u32_e32 v3, v4, v3
	v_mul_lo_u32 v4, s1, v1
	v_add_u32_e32 v3, v3, v4
	v_mul_lo_u32 v5, s0, v1
	v_mul_hi_u32 v6, v2, v5
	v_mul_lo_u32 v7, v2, v5
	v_mul_lo_u32 v9, v1, v3
	v_mul_hi_u32 v5, v1, v5
	v_mul_hi_u32 v8, v1, v3
	v_add_co_u32_e32 v5, vcc, v5, v9
	v_addc_co_u32_e32 v8, vcc, 0, v8, vcc
	v_add_co_u32_e32 v5, vcc, v5, v7
	v_mul_hi_u32 v4, v2, v3
	v_addc_co_u32_e32 v5, vcc, v8, v6, vcc
	v_addc_co_u32_e32 v4, vcc, 0, v4, vcc
	v_mul_lo_u32 v3, v2, v3
	v_add_co_u32_e32 v3, vcc, v5, v3
	v_addc_co_u32_e32 v4, vcc, 0, v4, vcc
	v_add_co_u32_e32 v1, vcc, v1, v3
	v_addc_co_u32_e32 v4, vcc, v2, v4, vcc
	v_ashrrev_i32_e64 v6, 31, 0
	v_add_co_u32_e32 v2, vcc, v0, v6
	v_addc_co_u32_e32 v3, vcc, 0, v6, vcc
	v_xor_b32_e32 v8, v2, v6
	v_xor_b32_e32 v7, v3, v6
	v_mad_u64_u32 v[2:3], s[0:1], v8, v4, 0
	v_mul_hi_u32 v5, v8, v1
	v_add_co_u32_e32 v9, vcc, v5, v2
	v_addc_co_u32_e32 v10, vcc, 0, v3, vcc
	v_mad_u64_u32 v[2:3], s[0:1], v7, v4, 0
	v_mad_u64_u32 v[4:5], s[0:1], v7, v1, 0
	v_add_co_u32_e32 v1, vcc, v9, v4
	v_addc_co_u32_e32 v1, vcc, v10, v5, vcc
	v_addc_co_u32_e32 v3, vcc, 0, v3, vcc
	v_add_co_u32_e32 v1, vcc, v1, v2
	v_addc_co_u32_e32 v4, vcc, 0, v3, vcc
	v_mul_lo_u32 v5, s29, v1
	v_mul_lo_u32 v9, s28, v4
	v_mad_u64_u32 v[2:3], s[0:1], s28, v1, 0
	v_add3_u32 v3, v3, v9, v5
	v_sub_u32_e32 v5, v7, v3
	v_mov_b32_e32 v9, s29
	v_sub_co_u32_e32 v2, vcc, v8, v2
	v_subb_co_u32_e64 v5, s[0:1], v5, v9, vcc
	v_subrev_co_u32_e64 v8, s[0:1], s28, v2
	v_subbrev_co_u32_e64 v5, s[0:1], 0, v5, s[0:1]
	v_cmp_le_u32_e64 s[0:1], s29, v5
	v_cndmask_b32_e64 v9, 0, -1, s[0:1]
	v_cmp_le_u32_e64 s[0:1], s28, v8
	v_cndmask_b32_e64 v8, 0, -1, s[0:1]
	v_cmp_eq_u32_e64 s[0:1], s29, v5
	v_cndmask_b32_e64 v5, v9, v8, s[0:1]
	v_add_co_u32_e64 v8, s[0:1], 2, v1
	v_subb_co_u32_e32 v3, vcc, v7, v3, vcc
	v_addc_co_u32_e64 v9, s[0:1], 0, v4, s[0:1]
	v_cmp_le_u32_e32 vcc, s29, v3
	v_add_co_u32_e64 v10, s[0:1], 1, v1
	v_cndmask_b32_e64 v7, 0, -1, vcc
	v_cmp_le_u32_e32 vcc, s28, v2
	v_addc_co_u32_e64 v11, s[0:1], 0, v4, s[0:1]
	v_cndmask_b32_e64 v2, 0, -1, vcc
	v_cmp_eq_u32_e32 vcc, s29, v3
	v_cmp_ne_u32_e64 s[0:1], 0, v5
	v_cndmask_b32_e32 v2, v7, v2, vcc
	v_cmp_ne_u32_e32 vcc, 0, v2
	v_cndmask_b32_e64 v3, v10, v8, s[0:1]
	v_cndmask_b32_e64 v5, v11, v9, s[0:1]
	v_cndmask_b32_e32 v1, v1, v3, vcc
	v_xor_b32_e32 v3, s26, v6
	v_cndmask_b32_e32 v2, v4, v5, vcc
	v_xor_b32_e32 v1, v1, v3
	v_xor_b32_e32 v4, v2, v3
	v_sub_co_u32_e32 v2, vcc, v1, v3
	v_subb_co_u32_e32 v3, vcc, v4, v3, vcc
	s_cbranch_execnz .LBB18_4
.LBB18_3:
	v_cvt_f32_u32_e32 v1, s6
	s_sub_i32 s0, 0, s6
	v_rcp_iflag_f32_e32 v1, v1
	v_mul_f32_e32 v1, 0x4f7ffffe, v1
	v_cvt_u32_f32_e32 v1, v1
	v_mul_lo_u32 v2, s0, v1
	v_mul_hi_u32 v2, v1, v2
	v_add_u32_e32 v1, v1, v2
	v_mul_hi_u32 v1, v0, v1
	v_mul_lo_u32 v2, v1, s6
	v_sub_u32_e32 v2, v0, v2
	v_add_u32_e32 v3, 1, v1
	v_subrev_u32_e32 v4, s6, v2
	v_cmp_le_u32_e32 vcc, s6, v2
	v_cndmask_b32_e32 v2, v2, v4, vcc
	v_cndmask_b32_e32 v1, v1, v3, vcc
	v_add_u32_e32 v3, 1, v1
	v_cmp_le_u32_e32 vcc, s6, v2
	v_cndmask_b32_e32 v2, v1, v3, vcc
	v_mov_b32_e32 v3, 0
.LBB18_4:
	s_sub_u32 s0, 0, s24
	s_subb_u32 s1, 0, s25
	s_sub_u32 s4, 0, s10
	s_subb_u32 s5, 0, s11
	s_waitcnt lgkmcnt(0)
	s_add_i32 s2, s7, s20
	s_add_i32 s7, s8, s21
	s_mul_i32 s7, s7, s22
	s_add_i32 s2, s2, s7
	s_mul_i32 s7, s2, s19
	s_mul_hi_u32 s8, s2, s18
	s_add_i32 s8, s8, s7
	s_mul_i32 s7, s2, s18
	v_mul_lo_u32 v1, v3, s6
	v_mul_lo_u32 v6, v2, s3
	v_mad_u64_u32 v[4:5], s[18:19], v2, s6, 0
	v_add3_u32 v1, v5, v6, v1
	v_sub_co_u32_e32 v0, vcc, v0, v4
	v_subb_co_u32_e32 v1, vcc, 0, v1, vcc
	v_mov_b32_e32 v5, s11
	v_subrev_co_u32_e32 v4, vcc, s10, v0
	v_subb_co_u32_e32 v5, vcc, v1, v5, vcc
	v_ashrrev_i32_e32 v6, 31, v5
	v_xor_b32_e32 v4, v4, v6
	v_xor_b32_e32 v5, v5, v6
	v_sub_co_u32_e32 v4, vcc, v4, v6
	v_subb_co_u32_e32 v5, vcc, v5, v6, vcc
	v_mov_b32_e32 v6, s33
	v_subrev_co_u32_e32 v7, vcc, s31, v0
	v_subb_co_u32_e32 v6, vcc, v1, v6, vcc
	v_add_co_u32_e32 v7, vcc, 1, v7
	v_addc_co_u32_e32 v6, vcc, 0, v6, vcc
	v_ashrrev_i32_e32 v8, 31, v6
	v_xor_b32_e32 v7, v7, v8
	v_xor_b32_e32 v6, v6, v8
	v_sub_co_u32_e32 v9, vcc, v7, v8
	v_cmp_gt_i64_e64 s[18:19], s[4:5], 0
	v_subb_co_u32_e32 v8, vcc, v6, v8, vcc
	s_and_b64 s[18:19], s[18:19], exec
	v_mov_b32_e32 v6, s25
	v_subrev_co_u32_e32 v7, vcc, s24, v2
	s_cselect_b32 s18, s5, 0
	s_cselect_b32 s19, s4, 0
	v_cmp_gt_i64_e64 s[4:5], s[0:1], 0
	v_subb_co_u32_e32 v6, vcc, v3, v6, vcc
	s_and_b64 s[4:5], s[4:5], exec
	v_ashrrev_i32_e32 v10, 31, v6
	s_cselect_b32 s20, s1, 0
	s_cselect_b32 s21, s0, 0
	v_cmp_gt_i64_e64 s[0:1], s[10:11], 0
	v_xor_b32_e32 v7, v7, v10
	s_and_b64 s[0:1], s[0:1], exec
	v_cmp_gt_i64_e64 s[4:5], s[24:25], 0
	v_xor_b32_e32 v6, v6, v10
	v_sub_co_u32_e32 v7, vcc, v7, v10
	s_cselect_b32 s1, s11, 0
	s_cselect_b32 s0, s10, 0
	s_and_b64 s[4:5], s[4:5], exec
	v_subb_co_u32_e32 v6, vcc, v6, v10, vcc
	s_cselect_b32 s5, s25, 0
	s_cselect_b32 s4, s24, 0
	v_mov_b32_e32 v10, s35
	v_subrev_co_u32_e32 v11, vcc, s34, v2
	s_not_b64 s[0:1], s[0:1]
	v_subb_co_u32_e32 v10, vcc, v3, v10, vcc
	s_not_b64 s[4:5], s[4:5]
	v_add_co_u32_e32 v11, vcc, 1, v11
	s_add_u32 s22, s34, s24
	v_addc_co_u32_e32 v10, vcc, 0, v10, vcc
	s_addc_u32 s23, s35, s25
	v_ashrrev_i32_e32 v12, 31, v10
	s_add_u32 s4, s22, s4
	v_xor_b32_e32 v11, v11, v12
	s_addc_u32 s5, s23, s5
	v_xor_b32_e32 v10, v10, v12
	v_sub_co_u32_e32 v11, vcc, v11, v12
	s_add_u32 s4, s4, s21
	v_subb_co_u32_e32 v10, vcc, v10, v12, vcc
	s_addc_u32 s5, s5, s20
	s_add_u32 s4, s4, s7
	v_add_co_u32_e32 v11, vcc, v2, v11
	s_addc_u32 s5, s5, s8
	v_addc_co_u32_e32 v10, vcc, v3, v10, vcc
	v_mov_b32_e32 v12, s5
	v_sub_co_u32_e32 v11, vcc, s4, v11
	v_subb_co_u32_e32 v10, vcc, v12, v10, vcc
	v_add_co_u32_e32 v7, vcc, v11, v7
	v_addc_co_u32_e32 v6, vcc, v10, v6, vcc
	v_mul_lo_u32 v10, v6, s16
	v_mul_lo_u32 v11, v7, s17
	v_mad_u64_u32 v[6:7], s[4:5], v7, s16, 0
	s_add_u32 s4, s31, s10
	s_addc_u32 s5, s33, s11
	s_add_u32 s0, s4, s0
	s_addc_u32 s1, s5, s1
	s_add_u32 s0, s0, s19
	v_add_co_u32_e32 v9, vcc, v0, v9
	v_add3_u32 v7, v7, v11, v10
	s_addc_u32 s1, s1, s18
	v_addc_co_u32_e32 v10, vcc, v1, v8, vcc
	v_mov_b32_e32 v11, s1
	v_sub_co_u32_e32 v8, vcc, s0, v9
	v_subb_co_u32_e32 v9, vcc, v11, v10, vcc
	v_mov_b32_e32 v10, s2
	s_mul_i32 s30, s30, s2
	v_mad_u64_u32 v[2:3], s[0:1], s9, v10, v[2:3]
	v_add_u32_e32 v3, s30, v3
	v_mul_lo_u32 v3, v3, s6
	v_mul_lo_u32 v12, v2, s3
	v_mad_u64_u32 v[10:11], s[0:1], v2, s6, 0
	v_add3_u32 v11, v11, v12, v3
	v_lshlrev_b64 v[2:3], 3, v[8:9]
	v_mov_b32_e32 v8, s13
	v_add_co_u32_e32 v9, vcc, s12, v2
	v_addc_co_u32_e32 v8, vcc, v8, v3, vcc
	v_lshlrev_b64 v[2:3], 3, v[4:5]
	v_add_co_u32_e32 v4, vcc, v9, v2
	v_addc_co_u32_e32 v5, vcc, v8, v3, vcc
	v_lshlrev_b64 v[2:3], 3, v[6:7]
	;; [unrolled: 3-line block ×3, first 2 shown]
	v_mov_b32_e32 v6, s15
	v_add_co_u32_e32 v4, vcc, s14, v4
	v_addc_co_u32_e32 v5, vcc, v6, v5, vcc
	v_lshlrev_b64 v[0:1], 3, v[0:1]
	v_add_co_u32_e32 v6, vcc, v4, v0
	v_addc_co_u32_e32 v7, vcc, v5, v1, vcc
	global_load_dwordx2 v[0:1], v[6:7], off
	global_load_dword v5, v[2:3], off
	s_mov_b64 s[0:1], 0
.LBB18_5:                               ; =>This Inner Loop Header: Depth=1
	s_waitcnt vmcnt(0)
	v_add_f32_e32 v4, v5, v0
	global_atomic_cmpswap v4, v[2:3], v[4:5], off glc
	s_waitcnt vmcnt(0)
	v_cmp_eq_u32_e32 vcc, v4, v5
	s_or_b64 s[0:1], vcc, s[0:1]
	v_mov_b32_e32 v5, v4
	s_andn2_b64 exec, exec, s[0:1]
	s_cbranch_execnz .LBB18_5
; %bb.6:
	s_or_b64 exec, exec, s[0:1]
	global_load_dword v5, v[2:3], off offset:4
	s_mov_b64 s[0:1], 0
.LBB18_7:                               ; =>This Inner Loop Header: Depth=1
	s_waitcnt vmcnt(0)
	v_add_f32_e32 v4, v5, v1
	global_atomic_cmpswap v0, v[2:3], v[4:5], off offset:4 glc
	s_waitcnt vmcnt(0)
	v_cmp_eq_u32_e32 vcc, v0, v5
	s_or_b64 s[0:1], vcc, s[0:1]
	v_mov_b32_e32 v5, v0
	s_andn2_b64 exec, exec, s[0:1]
	s_cbranch_execnz .LBB18_7
.LBB18_8:
	s_endpgm
.LBB18_9:
                                        ; implicit-def: $vgpr2_vgpr3
	s_branch .LBB18_3
	.section	.rodata,"a",@progbits
	.p2align	6, 0x0
	.amdhsa_kernel _ZN2at6native12_GLOBAL__N_136reflection_pad2d_backward_out_kernelIN3c107complexIfEEEEvPT_PKS6_lliiiiiii
		.amdhsa_group_segment_fixed_size 0
		.amdhsa_private_segment_fixed_size 0
		.amdhsa_kernarg_size 320
		.amdhsa_user_sgpr_count 6
		.amdhsa_user_sgpr_private_segment_buffer 1
		.amdhsa_user_sgpr_dispatch_ptr 0
		.amdhsa_user_sgpr_queue_ptr 0
		.amdhsa_user_sgpr_kernarg_segment_ptr 1
		.amdhsa_user_sgpr_dispatch_id 0
		.amdhsa_user_sgpr_flat_scratch_init 0
		.amdhsa_user_sgpr_kernarg_preload_length 0
		.amdhsa_user_sgpr_kernarg_preload_offset 0
		.amdhsa_user_sgpr_private_segment_size 0
		.amdhsa_uses_dynamic_stack 0
		.amdhsa_system_sgpr_private_segment_wavefront_offset 0
		.amdhsa_system_sgpr_workgroup_id_x 1
		.amdhsa_system_sgpr_workgroup_id_y 1
		.amdhsa_system_sgpr_workgroup_id_z 1
		.amdhsa_system_sgpr_workgroup_info 0
		.amdhsa_system_vgpr_workitem_id 0
		.amdhsa_next_free_vgpr 13
		.amdhsa_next_free_sgpr 36
		.amdhsa_accum_offset 16
		.amdhsa_reserve_vcc 1
		.amdhsa_reserve_flat_scratch 0
		.amdhsa_float_round_mode_32 0
		.amdhsa_float_round_mode_16_64 0
		.amdhsa_float_denorm_mode_32 3
		.amdhsa_float_denorm_mode_16_64 3
		.amdhsa_dx10_clamp 1
		.amdhsa_ieee_mode 1
		.amdhsa_fp16_overflow 0
		.amdhsa_tg_split 0
		.amdhsa_exception_fp_ieee_invalid_op 0
		.amdhsa_exception_fp_denorm_src 0
		.amdhsa_exception_fp_ieee_div_zero 0
		.amdhsa_exception_fp_ieee_overflow 0
		.amdhsa_exception_fp_ieee_underflow 0
		.amdhsa_exception_fp_ieee_inexact 0
		.amdhsa_exception_int_div_zero 0
	.end_amdhsa_kernel
	.section	.text._ZN2at6native12_GLOBAL__N_136reflection_pad2d_backward_out_kernelIN3c107complexIfEEEEvPT_PKS6_lliiiiiii,"axG",@progbits,_ZN2at6native12_GLOBAL__N_136reflection_pad2d_backward_out_kernelIN3c107complexIfEEEEvPT_PKS6_lliiiiiii,comdat
.Lfunc_end18:
	.size	_ZN2at6native12_GLOBAL__N_136reflection_pad2d_backward_out_kernelIN3c107complexIfEEEEvPT_PKS6_lliiiiiii, .Lfunc_end18-_ZN2at6native12_GLOBAL__N_136reflection_pad2d_backward_out_kernelIN3c107complexIfEEEEvPT_PKS6_lliiiiiii
                                        ; -- End function
	.section	.AMDGPU.csdata,"",@progbits
; Kernel info:
; codeLenInByte = 1668
; NumSgprs: 40
; NumVgprs: 13
; NumAgprs: 0
; TotalNumVgprs: 13
; ScratchSize: 0
; MemoryBound: 0
; FloatMode: 240
; IeeeMode: 1
; LDSByteSize: 0 bytes/workgroup (compile time only)
; SGPRBlocks: 4
; VGPRBlocks: 1
; NumSGPRsForWavesPerEU: 40
; NumVGPRsForWavesPerEU: 13
; AccumOffset: 16
; Occupancy: 8
; WaveLimiterHint : 0
; COMPUTE_PGM_RSRC2:SCRATCH_EN: 0
; COMPUTE_PGM_RSRC2:USER_SGPR: 6
; COMPUTE_PGM_RSRC2:TRAP_HANDLER: 0
; COMPUTE_PGM_RSRC2:TGID_X_EN: 1
; COMPUTE_PGM_RSRC2:TGID_Y_EN: 1
; COMPUTE_PGM_RSRC2:TGID_Z_EN: 1
; COMPUTE_PGM_RSRC2:TIDIG_COMP_CNT: 0
; COMPUTE_PGM_RSRC3_GFX90A:ACCUM_OFFSET: 3
; COMPUTE_PGM_RSRC3_GFX90A:TG_SPLIT: 0
	.section	.text._ZN2at6native12_GLOBAL__N_140reflection_pad2d_backward_det_out_kernelIN3c104HalfEEEvPT_PKS5_lliiiiiii,"axG",@progbits,_ZN2at6native12_GLOBAL__N_140reflection_pad2d_backward_det_out_kernelIN3c104HalfEEEvPT_PKS5_lliiiiiii,comdat
	.globl	_ZN2at6native12_GLOBAL__N_140reflection_pad2d_backward_det_out_kernelIN3c104HalfEEEvPT_PKS5_lliiiiiii ; -- Begin function _ZN2at6native12_GLOBAL__N_140reflection_pad2d_backward_det_out_kernelIN3c104HalfEEEvPT_PKS5_lliiiiiii
	.p2align	8
	.type	_ZN2at6native12_GLOBAL__N_140reflection_pad2d_backward_det_out_kernelIN3c104HalfEEEvPT_PKS5_lliiiiiii,@function
_ZN2at6native12_GLOBAL__N_140reflection_pad2d_backward_det_out_kernelIN3c104HalfEEEvPT_PKS5_lliiiiiii: ; @_ZN2at6native12_GLOBAL__N_140reflection_pad2d_backward_det_out_kernelIN3c104HalfEEEvPT_PKS5_lliiiiiii
; %bb.0:
	s_load_dword s2, s[4:5], 0x4c
	s_load_dwordx2 s[0:1], s[4:5], 0x30
	s_load_dwordx8 s[8:15], s[4:5], 0x0
	s_add_u32 s18, s4, 64
	s_addc_u32 s19, s5, 0
	s_waitcnt lgkmcnt(0)
	s_and_b32 s22, s2, 0xffff
	s_ashr_i32 s2, s0, 31
	s_mul_i32 s3, s14, s13
	s_mul_hi_u32 s16, s14, s12
	s_add_i32 s33, s16, s3
	s_mul_i32 s3, s15, s12
	s_mul_i32 s50, s14, s12
	s_add_i32 s33, s33, s3
	s_mul_i32 s2, s50, s2
	s_mul_hi_u32 s16, s50, s0
	s_ashr_i32 s7, s1, 31
	s_mul_i32 s3, s33, s0
	s_add_i32 s2, s16, s2
	s_mul_i32 s0, s50, s0
	s_add_i32 s2, s2, s3
	s_mul_i32 s3, s0, s7
	s_mul_hi_u32 s16, s0, s1
	s_mul_i32 s6, s6, s22
	v_mov_b32_e32 v2, 0
	s_mul_i32 s2, s2, s1
	s_add_i32 s3, s16, s3
	v_add_u32_e32 v0, s6, v0
	v_mov_b32_e32 v1, v2
	s_add_i32 s17, s3, s2
	s_mul_i32 s16, s0, s1
	s_mov_b32 s6, s1
	v_cmp_gt_i64_e32 vcc, s[16:17], v[0:1]
	s_and_saveexec_b64 s[0:1], vcc
	s_cbranch_execz .LBB19_53
; %bb.1:
	s_load_dwordx4 s[0:3], s[4:5], 0x20
	s_load_dword s24, s[18:19], 0x0
	v_sub_co_u32_e32 v4, vcc, 0, v0
	s_mul_i32 s54, s50, s6
	s_waitcnt lgkmcnt(0)
	s_ashr_i32 s5, s2, 31
	s_add_u32 s34, s2, s12
	s_addc_u32 s35, s5, s13
	s_ashr_i32 s31, s3, 31
	s_add_u32 s51, s34, s3
	s_addc_u32 s52, s35, s31
	s_ashr_i32 s19, s0, 31
	s_mov_b32 s30, s3
	s_add_u32 s3, s0, s14
	s_addc_u32 s20, s19, s15
	s_ashr_i32 s27, s1, 31
	s_mov_b32 s26, s1
	s_add_u32 s1, s3, s1
	s_addc_u32 s3, s20, s27
	s_mul_i32 s3, s51, s3
	s_mul_hi_u32 s20, s51, s1
	s_add_i32 s3, s20, s3
	s_mul_i32 s20, s52, s1
	s_add_i32 s21, s3, s20
	s_mul_i32 s20, s51, s1
	s_mul_i32 s1, s50, s7
	s_mul_hi_u32 s3, s50, s6
	s_add_i32 s1, s3, s1
	s_mul_i32 s3, s33, s6
	s_add_i32 s53, s1, s3
	s_mul_hi_u32 s23, s22, s24
	s_mul_i32 s22, s22, s24
	s_add_u32 s24, s14, -1
	s_addc_u32 s25, s15, -1
	s_not_b64 s[26:27], s[26:27]
	s_add_u32 s26, s26, s14
	s_addc_u32 s27, s27, s15
	s_add_u32 s28, s12, -1
	s_addc_u32 s29, s13, -1
	s_not_b64 s[30:31], s[30:31]
	s_add_u32 s30, s30, s12
	s_mul_i32 s1, s20, s7
	s_mul_hi_u32 s3, s20, s6
	s_addc_u32 s31, s31, s13
	s_add_i32 s1, s3, s1
	s_mul_i32 s3, s21, s6
	s_add_i32 s55, s1, s3
	s_add_u32 s1, s12, s34
	s_addc_u32 s3, s13, s35
	s_add_u32 s57, s1, -2
	s_addc_u32 s58, s3, -1
	s_lshl_b64 s[34:35], s[24:25], 1
	s_add_u32 s59, s34, s0
	s_mov_b32 s18, s0
	s_addc_u32 s60, s35, s19
	s_lshl_b64 s[0:1], s[28:29], 1
	s_add_u32 s61, s0, s2
	s_addc_u32 s62, s1, s5
	s_mov_b32 s4, s2
	s_sub_u32 s63, 0, s14
	v_subb_co_u32_e64 v5, s[0:1], 0, 0, vcc
	s_subb_u32 s64, 0, s15
	s_lshl_b64 s[36:37], s[6:7], 1
	s_lshl_b64 s[38:39], s[12:13], 1
	;; [unrolled: 1-line block ×3, first 2 shown]
	s_add_u32 s65, s10, s0
	s_addc_u32 s66, s11, s1
	s_lshl_b64 s[40:41], s[22:23], 1
	s_sub_u32 s67, 0, s50
	s_mul_i32 s56, s20, s6
	s_mov_b64 s[34:35], 0
	v_lshlrev_b64 v[6:7], 1, v[0:1]
	s_subb_u32 s68, 0, s33
	s_branch .LBB19_4
.LBB19_2:                               ;   in Loop: Header=BB19_4 Depth=1
	s_or_b64 exec, exec, s[0:1]
.LBB19_3:                               ;   in Loop: Header=BB19_4 Depth=1
	s_or_b64 exec, exec, s[42:43]
	v_lshlrev_b64 v[10:11], 1, v[12:13]
	v_mul_lo_u32 v12, s36, v9
	v_mul_lo_u32 v13, s37, v8
	v_mad_u64_u32 v[8:9], s[0:1], s36, v8, v[10:11]
	v_add3_u32 v9, v13, v9, v12
	v_mul_lo_u32 v12, s39, v3
	v_mul_lo_u32 v13, s38, v22
	v_mad_u64_u32 v[10:11], s[0:1], s38, v3, 0
	v_add3_u32 v11, v11, v13, v12
	v_mul_lo_u32 v3, s20, v9
	v_mad_u64_u32 v[10:11], s[0:1], s20, v8, v[10:11]
	v_mul_lo_u32 v8, s21, v8
	v_add3_u32 v3, v8, v11, v3
	v_lshlrev_b64 v[8:9], 1, v[18:19]
	v_add_co_u32_e32 v8, vcc, v10, v8
	v_addc_co_u32_e32 v3, vcc, v3, v9, vcc
	v_add_co_u32_e32 v8, vcc, v6, v8
	v_addc_co_u32_e32 v3, vcc, v7, v3, vcc
	v_mov_b32_e32 v9, s66
	v_add_co_u32_e32 v8, vcc, s65, v8
	v_addc_co_u32_e32 v9, vcc, v9, v3, vcc
	global_load_ushort v3, v[8:9], off
	v_mov_b32_e32 v9, s9
	v_add_co_u32_e32 v8, vcc, s8, v6
	v_addc_co_u32_e32 v9, vcc, v9, v7, vcc
	global_load_ushort v10, v[8:9], off
	v_mov_b32_e32 v11, s23
	v_add_co_u32_e32 v0, vcc, s22, v0
	v_addc_co_u32_e32 v1, vcc, v1, v11, vcc
	v_subrev_co_u32_e32 v4, vcc, s22, v4
	v_subb_co_u32_e32 v5, vcc, v5, v11, vcc
	v_cmp_le_i64_e32 vcc, s[16:17], v[0:1]
	v_mov_b32_e32 v12, s41
	s_or_b64 s[34:35], vcc, s[34:35]
	v_add_co_u32_e32 v6, vcc, s40, v6
	v_addc_co_u32_e32 v7, vcc, v7, v12, vcc
	s_waitcnt vmcnt(1)
	v_add_f16_e32 v3, v23, v3
	s_waitcnt vmcnt(0)
	v_add_f16_e32 v3, v10, v3
	global_store_short v[8:9], v3, off
	s_andn2_b64 exec, exec, s[34:35]
	s_cbranch_execz .LBB19_53
.LBB19_4:                               ; =>This Inner Loop Header: Depth=1
	v_or_b32_e32 v3, s53, v1
	v_cmp_ne_u64_e32 vcc, 0, v[2:3]
	v_ashrrev_i32_e32 v12, 31, v1
                                        ; implicit-def: $vgpr8_vgpr9
	s_and_saveexec_b64 s[0:1], vcc
	s_xor_b64 s[2:3], exec, s[0:1]
	s_cbranch_execz .LBB19_6
; %bb.5:                                ;   in Loop: Header=BB19_4 Depth=1
	s_ashr_i32 s42, s53, 31
	s_add_u32 s0, s54, s42
	s_mov_b32 s43, s42
	s_addc_u32 s1, s53, s42
	s_xor_b64 s[44:45], s[0:1], s[42:43]
	v_cvt_f32_u32_e32 v3, s44
	v_cvt_f32_u32_e32 v8, s45
	s_sub_u32 s0, 0, s44
	s_subb_u32 s1, 0, s45
	v_mac_f32_e32 v3, 0x4f800000, v8
	v_rcp_f32_e32 v3, v3
	v_mul_f32_e32 v3, 0x5f7ffffc, v3
	v_mul_f32_e32 v8, 0x2f800000, v3
	v_trunc_f32_e32 v8, v8
	v_mac_f32_e32 v3, 0xcf800000, v8
	v_cvt_u32_f32_e32 v8, v8
	v_cvt_u32_f32_e32 v3, v3
	v_mul_lo_u32 v9, s0, v8
	v_mul_hi_u32 v11, s0, v3
	v_mul_lo_u32 v10, s1, v3
	v_add_u32_e32 v9, v11, v9
	v_mul_lo_u32 v13, s0, v3
	v_add_u32_e32 v9, v9, v10
	v_mul_lo_u32 v11, v3, v9
	v_mul_hi_u32 v14, v3, v13
	v_mul_hi_u32 v10, v3, v9
	v_add_co_u32_e32 v11, vcc, v14, v11
	v_addc_co_u32_e32 v10, vcc, 0, v10, vcc
	v_mul_hi_u32 v15, v8, v13
	v_mul_lo_u32 v13, v8, v13
	v_add_co_u32_e32 v11, vcc, v11, v13
	v_mul_hi_u32 v14, v8, v9
	v_addc_co_u32_e32 v10, vcc, v10, v15, vcc
	v_addc_co_u32_e32 v11, vcc, 0, v14, vcc
	v_mul_lo_u32 v9, v8, v9
	v_add_co_u32_e32 v9, vcc, v10, v9
	v_addc_co_u32_e32 v10, vcc, 0, v11, vcc
	v_add_co_u32_e32 v3, vcc, v3, v9
	v_addc_co_u32_e32 v8, vcc, v8, v10, vcc
	v_mul_lo_u32 v9, s0, v8
	v_mul_hi_u32 v10, s0, v3
	v_add_u32_e32 v9, v10, v9
	v_mul_lo_u32 v10, s1, v3
	v_add_u32_e32 v9, v9, v10
	v_mul_lo_u32 v11, s0, v3
	v_mul_hi_u32 v13, v8, v11
	v_mul_lo_u32 v14, v8, v11
	v_mul_lo_u32 v16, v3, v9
	v_mul_hi_u32 v11, v3, v11
	v_mul_hi_u32 v15, v3, v9
	v_add_co_u32_e32 v11, vcc, v11, v16
	v_addc_co_u32_e32 v15, vcc, 0, v15, vcc
	v_add_co_u32_e32 v11, vcc, v11, v14
	v_mul_hi_u32 v10, v8, v9
	v_addc_co_u32_e32 v11, vcc, v15, v13, vcc
	v_addc_co_u32_e32 v10, vcc, 0, v10, vcc
	v_mul_lo_u32 v9, v8, v9
	v_add_co_u32_e32 v9, vcc, v11, v9
	v_addc_co_u32_e32 v10, vcc, 0, v10, vcc
	v_add_co_u32_e32 v3, vcc, v3, v9
	v_addc_co_u32_e32 v10, vcc, v8, v10, vcc
	;; [unrolled: 2-line block ×3, first 2 shown]
	v_xor_b32_e32 v14, v8, v12
	v_xor_b32_e32 v13, v9, v12
	v_mad_u64_u32 v[8:9], s[0:1], v14, v10, 0
	v_mul_hi_u32 v11, v14, v3
	v_add_co_u32_e32 v15, vcc, v11, v8
	v_addc_co_u32_e32 v16, vcc, 0, v9, vcc
	v_mad_u64_u32 v[8:9], s[0:1], v13, v10, 0
	v_mad_u64_u32 v[10:11], s[0:1], v13, v3, 0
	v_add_co_u32_e32 v3, vcc, v15, v10
	v_addc_co_u32_e32 v3, vcc, v16, v11, vcc
	v_addc_co_u32_e32 v9, vcc, 0, v9, vcc
	v_add_co_u32_e32 v3, vcc, v3, v8
	v_addc_co_u32_e32 v10, vcc, 0, v9, vcc
	v_mul_lo_u32 v11, s45, v3
	v_mul_lo_u32 v15, s44, v10
	v_mad_u64_u32 v[8:9], s[0:1], s44, v3, 0
	v_add3_u32 v9, v9, v15, v11
	v_sub_u32_e32 v11, v13, v9
	v_mov_b32_e32 v15, s45
	v_sub_co_u32_e32 v8, vcc, v14, v8
	v_subb_co_u32_e64 v11, s[0:1], v11, v15, vcc
	v_subrev_co_u32_e64 v14, s[0:1], s44, v8
	v_subbrev_co_u32_e64 v11, s[0:1], 0, v11, s[0:1]
	v_cmp_le_u32_e64 s[0:1], s45, v11
	v_cndmask_b32_e64 v15, 0, -1, s[0:1]
	v_cmp_le_u32_e64 s[0:1], s44, v14
	v_cndmask_b32_e64 v14, 0, -1, s[0:1]
	v_cmp_eq_u32_e64 s[0:1], s45, v11
	v_cndmask_b32_e64 v11, v15, v14, s[0:1]
	v_add_co_u32_e64 v14, s[0:1], 2, v3
	v_subb_co_u32_e32 v9, vcc, v13, v9, vcc
	v_addc_co_u32_e64 v15, s[0:1], 0, v10, s[0:1]
	v_cmp_le_u32_e32 vcc, s45, v9
	v_add_co_u32_e64 v16, s[0:1], 1, v3
	v_cndmask_b32_e64 v13, 0, -1, vcc
	v_cmp_le_u32_e32 vcc, s44, v8
	v_addc_co_u32_e64 v17, s[0:1], 0, v10, s[0:1]
	v_cndmask_b32_e64 v8, 0, -1, vcc
	v_cmp_eq_u32_e32 vcc, s45, v9
	v_cmp_ne_u32_e64 s[0:1], 0, v11
	v_cndmask_b32_e32 v8, v13, v8, vcc
	v_cmp_ne_u32_e32 vcc, 0, v8
	v_cndmask_b32_e64 v9, v16, v14, s[0:1]
	v_cndmask_b32_e64 v11, v17, v15, s[0:1]
	v_cndmask_b32_e32 v3, v3, v9, vcc
	v_xor_b32_e32 v9, s42, v12
	v_cndmask_b32_e32 v8, v10, v11, vcc
	v_xor_b32_e32 v3, v3, v9
	v_xor_b32_e32 v10, v8, v9
	v_sub_co_u32_e32 v8, vcc, v3, v9
	v_subb_co_u32_e32 v9, vcc, v10, v9, vcc
.LBB19_6:                               ;   in Loop: Header=BB19_4 Depth=1
	s_andn2_saveexec_b64 s[0:1], s[2:3]
	s_cbranch_execz .LBB19_8
; %bb.7:                                ;   in Loop: Header=BB19_4 Depth=1
	v_cvt_f32_u32_e32 v3, s54
	s_sub_i32 s2, 0, s54
	v_rcp_iflag_f32_e32 v3, v3
	v_mul_f32_e32 v3, 0x4f7ffffe, v3
	v_cvt_u32_f32_e32 v3, v3
	v_mul_lo_u32 v8, s2, v3
	v_mul_hi_u32 v8, v3, v8
	v_add_u32_e32 v3, v3, v8
	v_mul_hi_u32 v3, v0, v3
	v_mul_lo_u32 v8, v3, s54
	v_sub_u32_e32 v8, v0, v8
	v_add_u32_e32 v9, 1, v3
	v_subrev_u32_e32 v10, s54, v8
	v_cmp_le_u32_e32 vcc, s54, v8
	v_cndmask_b32_e32 v8, v8, v10, vcc
	v_cndmask_b32_e32 v3, v3, v9, vcc
	v_add_u32_e32 v9, 1, v3
	v_cmp_le_u32_e32 vcc, s54, v8
	v_cndmask_b32_e32 v8, v3, v9, vcc
	v_mov_b32_e32 v9, v2
.LBB19_8:                               ;   in Loop: Header=BB19_4 Depth=1
	s_or_b64 exec, exec, s[0:1]
	v_or_b32_e32 v3, s33, v1
	v_cmp_ne_u64_e32 vcc, 0, v[2:3]
                                        ; implicit-def: $vgpr10_vgpr11
	s_and_saveexec_b64 s[0:1], vcc
	s_xor_b64 s[2:3], exec, s[0:1]
	s_cbranch_execz .LBB19_10
; %bb.9:                                ;   in Loop: Header=BB19_4 Depth=1
	s_ashr_i32 s42, s33, 31
	s_add_u32 s0, s50, s42
	s_mov_b32 s43, s42
	s_addc_u32 s1, s33, s42
	s_xor_b64 s[44:45], s[0:1], s[42:43]
	v_cvt_f32_u32_e32 v3, s44
	v_cvt_f32_u32_e32 v10, s45
	s_sub_u32 s0, 0, s44
	s_subb_u32 s1, 0, s45
	v_mac_f32_e32 v3, 0x4f800000, v10
	v_rcp_f32_e32 v3, v3
	v_mul_f32_e32 v3, 0x5f7ffffc, v3
	v_mul_f32_e32 v10, 0x2f800000, v3
	v_trunc_f32_e32 v10, v10
	v_mac_f32_e32 v3, 0xcf800000, v10
	v_cvt_u32_f32_e32 v10, v10
	v_cvt_u32_f32_e32 v3, v3
	v_mul_lo_u32 v11, s0, v10
	v_mul_hi_u32 v14, s0, v3
	v_mul_lo_u32 v13, s1, v3
	v_add_u32_e32 v11, v14, v11
	v_mul_lo_u32 v15, s0, v3
	v_add_u32_e32 v11, v11, v13
	v_mul_lo_u32 v14, v3, v11
	v_mul_hi_u32 v16, v3, v15
	v_mul_hi_u32 v13, v3, v11
	v_add_co_u32_e32 v14, vcc, v16, v14
	v_addc_co_u32_e32 v13, vcc, 0, v13, vcc
	v_mul_hi_u32 v17, v10, v15
	v_mul_lo_u32 v15, v10, v15
	v_add_co_u32_e32 v14, vcc, v14, v15
	v_mul_hi_u32 v16, v10, v11
	v_addc_co_u32_e32 v13, vcc, v13, v17, vcc
	v_addc_co_u32_e32 v14, vcc, 0, v16, vcc
	v_mul_lo_u32 v11, v10, v11
	v_add_co_u32_e32 v11, vcc, v13, v11
	v_addc_co_u32_e32 v13, vcc, 0, v14, vcc
	v_add_co_u32_e32 v3, vcc, v3, v11
	v_addc_co_u32_e32 v10, vcc, v10, v13, vcc
	v_mul_lo_u32 v11, s0, v10
	v_mul_hi_u32 v13, s0, v3
	v_add_u32_e32 v11, v13, v11
	v_mul_lo_u32 v13, s1, v3
	v_add_u32_e32 v11, v11, v13
	v_mul_lo_u32 v14, s0, v3
	v_mul_hi_u32 v15, v10, v14
	v_mul_lo_u32 v16, v10, v14
	v_mul_lo_u32 v18, v3, v11
	v_mul_hi_u32 v14, v3, v14
	v_mul_hi_u32 v17, v3, v11
	v_add_co_u32_e32 v14, vcc, v14, v18
	v_addc_co_u32_e32 v17, vcc, 0, v17, vcc
	v_add_co_u32_e32 v14, vcc, v14, v16
	v_mul_hi_u32 v13, v10, v11
	v_addc_co_u32_e32 v14, vcc, v17, v15, vcc
	v_addc_co_u32_e32 v13, vcc, 0, v13, vcc
	v_mul_lo_u32 v11, v10, v11
	v_add_co_u32_e32 v11, vcc, v14, v11
	v_addc_co_u32_e32 v13, vcc, 0, v13, vcc
	v_add_co_u32_e32 v3, vcc, v3, v11
	v_addc_co_u32_e32 v13, vcc, v10, v13, vcc
	;; [unrolled: 2-line block ×3, first 2 shown]
	v_xor_b32_e32 v17, v10, v12
	v_xor_b32_e32 v16, v11, v12
	v_mad_u64_u32 v[10:11], s[0:1], v17, v13, 0
	v_mul_hi_u32 v14, v17, v3
	v_add_co_u32_e32 v18, vcc, v14, v10
	v_addc_co_u32_e32 v19, vcc, 0, v11, vcc
	v_mad_u64_u32 v[14:15], s[0:1], v16, v3, 0
	v_add_co_u32_e32 v3, vcc, v18, v14
	v_mad_u64_u32 v[10:11], s[0:1], v16, v13, 0
	v_addc_co_u32_e32 v3, vcc, v19, v15, vcc
	v_addc_co_u32_e32 v11, vcc, 0, v11, vcc
	v_add_co_u32_e32 v3, vcc, v3, v10
	v_addc_co_u32_e32 v13, vcc, 0, v11, vcc
	v_mul_lo_u32 v14, s45, v3
	v_mul_lo_u32 v15, s44, v13
	v_mad_u64_u32 v[10:11], s[0:1], s44, v3, 0
	v_add3_u32 v11, v11, v15, v14
	v_sub_u32_e32 v14, v16, v11
	v_mov_b32_e32 v15, s45
	v_sub_co_u32_e32 v10, vcc, v17, v10
	v_subb_co_u32_e64 v14, s[0:1], v14, v15, vcc
	v_subrev_co_u32_e64 v15, s[0:1], s44, v10
	v_subbrev_co_u32_e64 v14, s[0:1], 0, v14, s[0:1]
	v_cmp_le_u32_e64 s[0:1], s45, v14
	v_cndmask_b32_e64 v17, 0, -1, s[0:1]
	v_cmp_le_u32_e64 s[0:1], s44, v15
	v_cndmask_b32_e64 v15, 0, -1, s[0:1]
	v_cmp_eq_u32_e64 s[0:1], s45, v14
	v_cndmask_b32_e64 v14, v17, v15, s[0:1]
	v_add_co_u32_e64 v15, s[0:1], 2, v3
	v_subb_co_u32_e32 v11, vcc, v16, v11, vcc
	v_addc_co_u32_e64 v17, s[0:1], 0, v13, s[0:1]
	v_cmp_le_u32_e32 vcc, s45, v11
	v_add_co_u32_e64 v18, s[0:1], 1, v3
	v_cndmask_b32_e64 v16, 0, -1, vcc
	v_cmp_le_u32_e32 vcc, s44, v10
	v_addc_co_u32_e64 v19, s[0:1], 0, v13, s[0:1]
	v_cndmask_b32_e64 v10, 0, -1, vcc
	v_cmp_eq_u32_e32 vcc, s45, v11
	v_cmp_ne_u32_e64 s[0:1], 0, v14
	v_cndmask_b32_e32 v10, v16, v10, vcc
	v_cmp_ne_u32_e32 vcc, 0, v10
	v_cndmask_b32_e64 v11, v18, v15, s[0:1]
	v_cndmask_b32_e64 v14, v19, v17, s[0:1]
	v_cndmask_b32_e32 v3, v3, v11, vcc
	v_xor_b32_e32 v11, s42, v12
	v_cndmask_b32_e32 v10, v13, v14, vcc
	v_xor_b32_e32 v3, v3, v11
	v_xor_b32_e32 v12, v10, v11
	v_sub_co_u32_e32 v10, vcc, v3, v11
	v_subb_co_u32_e32 v11, vcc, v12, v11, vcc
.LBB19_10:                              ;   in Loop: Header=BB19_4 Depth=1
	s_andn2_saveexec_b64 s[0:1], s[2:3]
	s_cbranch_execz .LBB19_12
; %bb.11:                               ;   in Loop: Header=BB19_4 Depth=1
	v_cvt_f32_u32_e32 v3, s50
	s_sub_i32 s2, 0, s50
	v_rcp_iflag_f32_e32 v3, v3
	v_mul_f32_e32 v3, 0x4f7ffffe, v3
	v_cvt_u32_f32_e32 v3, v3
	v_mul_lo_u32 v10, s2, v3
	v_mul_hi_u32 v10, v3, v10
	v_add_u32_e32 v3, v3, v10
	v_mul_hi_u32 v3, v0, v3
	v_mul_lo_u32 v10, v3, s50
	v_sub_u32_e32 v10, v0, v10
	v_add_u32_e32 v11, 1, v3
	v_subrev_u32_e32 v12, s50, v10
	v_cmp_le_u32_e32 vcc, s50, v10
	v_cndmask_b32_e32 v10, v10, v12, vcc
	v_cndmask_b32_e32 v3, v3, v11, vcc
	v_add_u32_e32 v11, 1, v3
	v_cmp_le_u32_e32 vcc, s50, v10
	v_cndmask_b32_e32 v10, v3, v11, vcc
	v_mov_b32_e32 v11, v2
.LBB19_12:                              ;   in Loop: Header=BB19_4 Depth=1
	s_or_b64 exec, exec, s[0:1]
	v_or_b32_e32 v3, s7, v11
	v_cmp_ne_u64_e32 vcc, 0, v[2:3]
                                        ; implicit-def: $vgpr12_vgpr13
	s_and_saveexec_b64 s[0:1], vcc
	s_xor_b64 s[42:43], exec, s[0:1]
	s_cbranch_execz .LBB19_14
; %bb.13:                               ;   in Loop: Header=BB19_4 Depth=1
	s_add_u32 s2, s6, s7
	s_mov_b32 s0, s7
	s_mov_b32 s1, s7
	s_addc_u32 s3, s7, s7
	s_xor_b64 s[44:45], s[2:3], s[0:1]
	v_cvt_f32_u32_e32 v3, s44
	v_cvt_f32_u32_e32 v12, s45
	s_sub_u32 s0, 0, s44
	s_subb_u32 s1, 0, s45
	v_mac_f32_e32 v3, 0x4f800000, v12
	v_rcp_f32_e32 v3, v3
	v_mul_f32_e32 v3, 0x5f7ffffc, v3
	v_mul_f32_e32 v12, 0x2f800000, v3
	v_trunc_f32_e32 v12, v12
	v_mac_f32_e32 v3, 0xcf800000, v12
	v_cvt_u32_f32_e32 v12, v12
	v_cvt_u32_f32_e32 v3, v3
	v_mul_lo_u32 v13, s0, v12
	v_mul_hi_u32 v15, s0, v3
	v_mul_lo_u32 v14, s1, v3
	v_add_u32_e32 v13, v15, v13
	v_mul_lo_u32 v16, s0, v3
	v_add_u32_e32 v13, v13, v14
	v_mul_lo_u32 v15, v3, v13
	v_mul_hi_u32 v17, v3, v16
	v_mul_hi_u32 v14, v3, v13
	v_add_co_u32_e32 v15, vcc, v17, v15
	v_addc_co_u32_e32 v14, vcc, 0, v14, vcc
	v_mul_hi_u32 v18, v12, v16
	v_mul_lo_u32 v16, v12, v16
	v_add_co_u32_e32 v15, vcc, v15, v16
	v_mul_hi_u32 v17, v12, v13
	v_addc_co_u32_e32 v14, vcc, v14, v18, vcc
	v_addc_co_u32_e32 v15, vcc, 0, v17, vcc
	v_mul_lo_u32 v13, v12, v13
	v_add_co_u32_e32 v13, vcc, v14, v13
	v_addc_co_u32_e32 v14, vcc, 0, v15, vcc
	v_add_co_u32_e32 v3, vcc, v3, v13
	v_addc_co_u32_e32 v12, vcc, v12, v14, vcc
	v_mul_lo_u32 v13, s0, v12
	v_mul_hi_u32 v14, s0, v3
	v_add_u32_e32 v13, v14, v13
	v_mul_lo_u32 v14, s1, v3
	v_add_u32_e32 v13, v13, v14
	v_mul_lo_u32 v15, s0, v3
	v_mul_hi_u32 v16, v12, v15
	v_mul_lo_u32 v17, v12, v15
	v_mul_lo_u32 v19, v3, v13
	v_mul_hi_u32 v15, v3, v15
	v_mul_hi_u32 v18, v3, v13
	v_add_co_u32_e32 v15, vcc, v15, v19
	v_addc_co_u32_e32 v18, vcc, 0, v18, vcc
	v_add_co_u32_e32 v15, vcc, v15, v17
	v_mul_hi_u32 v14, v12, v13
	v_addc_co_u32_e32 v15, vcc, v18, v16, vcc
	v_addc_co_u32_e32 v14, vcc, 0, v14, vcc
	v_mul_lo_u32 v13, v12, v13
	v_add_co_u32_e32 v13, vcc, v15, v13
	v_addc_co_u32_e32 v14, vcc, 0, v14, vcc
	v_add_co_u32_e32 v3, vcc, v3, v13
	v_addc_co_u32_e32 v14, vcc, v12, v14, vcc
	v_ashrrev_i32_e32 v16, 31, v11
	v_add_co_u32_e32 v12, vcc, v10, v16
	v_addc_co_u32_e32 v13, vcc, v11, v16, vcc
	v_xor_b32_e32 v18, v12, v16
	v_xor_b32_e32 v17, v13, v16
	v_mad_u64_u32 v[12:13], s[0:1], v18, v14, 0
	v_mul_hi_u32 v15, v18, v3
	v_add_co_u32_e32 v19, vcc, v15, v12
	v_addc_co_u32_e32 v20, vcc, 0, v13, vcc
	v_mad_u64_u32 v[12:13], s[0:1], v17, v14, 0
	v_mad_u64_u32 v[14:15], s[0:1], v17, v3, 0
	v_add_co_u32_e32 v3, vcc, v19, v14
	v_addc_co_u32_e32 v3, vcc, v20, v15, vcc
	v_addc_co_u32_e32 v13, vcc, 0, v13, vcc
	v_add_co_u32_e32 v3, vcc, v3, v12
	v_addc_co_u32_e32 v12, vcc, 0, v13, vcc
	v_mul_lo_u32 v14, s45, v3
	v_mul_lo_u32 v15, s44, v12
	v_mad_u64_u32 v[12:13], s[0:1], s44, v3, 0
	v_add3_u32 v3, v13, v15, v14
	v_sub_u32_e32 v13, v17, v3
	v_mov_b32_e32 v14, s45
	v_sub_co_u32_e32 v12, vcc, v18, v12
	v_subb_co_u32_e64 v13, s[0:1], v13, v14, vcc
	v_subrev_co_u32_e64 v15, s[0:1], s44, v12
	v_subbrev_co_u32_e64 v18, s[2:3], 0, v13, s[0:1]
	v_cmp_le_u32_e64 s[2:3], s45, v18
	v_cndmask_b32_e64 v19, 0, -1, s[2:3]
	v_cmp_le_u32_e64 s[2:3], s44, v15
	v_subb_co_u32_e64 v13, s[0:1], v13, v14, s[0:1]
	v_cndmask_b32_e64 v20, 0, -1, s[2:3]
	v_cmp_eq_u32_e64 s[2:3], s45, v18
	v_subrev_co_u32_e64 v14, s[0:1], s44, v15
	v_subb_co_u32_e32 v3, vcc, v17, v3, vcc
	v_cndmask_b32_e64 v19, v19, v20, s[2:3]
	v_subbrev_co_u32_e64 v13, s[0:1], 0, v13, s[0:1]
	v_cmp_le_u32_e32 vcc, s45, v3
	v_cmp_ne_u32_e64 s[0:1], 0, v19
	v_cndmask_b32_e64 v17, 0, -1, vcc
	v_cmp_le_u32_e32 vcc, s44, v12
	v_cndmask_b32_e64 v13, v18, v13, s[0:1]
	v_cndmask_b32_e64 v18, 0, -1, vcc
	v_cmp_eq_u32_e32 vcc, s45, v3
	v_cndmask_b32_e32 v17, v17, v18, vcc
	v_cmp_ne_u32_e32 vcc, 0, v17
	v_cndmask_b32_e32 v3, v3, v13, vcc
	v_cndmask_b32_e64 v13, v15, v14, s[0:1]
	v_cndmask_b32_e32 v12, v12, v13, vcc
	v_xor_b32_e32 v12, v12, v16
	v_xor_b32_e32 v3, v3, v16
	v_sub_co_u32_e32 v12, vcc, v12, v16
	v_subb_co_u32_e32 v13, vcc, v3, v16, vcc
.LBB19_14:                              ;   in Loop: Header=BB19_4 Depth=1
	s_andn2_saveexec_b64 s[0:1], s[42:43]
	s_cbranch_execz .LBB19_16
; %bb.15:                               ;   in Loop: Header=BB19_4 Depth=1
	v_cvt_f32_u32_e32 v3, s6
	s_sub_i32 s2, 0, s6
	v_mov_b32_e32 v13, v2
	v_rcp_iflag_f32_e32 v3, v3
	v_mul_f32_e32 v3, 0x4f7ffffe, v3
	v_cvt_u32_f32_e32 v3, v3
	v_mul_lo_u32 v12, s2, v3
	v_mul_hi_u32 v12, v3, v12
	v_add_u32_e32 v3, v3, v12
	v_mul_hi_u32 v3, v10, v3
	v_mul_lo_u32 v3, v3, s6
	v_sub_u32_e32 v3, v10, v3
	v_subrev_u32_e32 v12, s6, v3
	v_cmp_le_u32_e32 vcc, s6, v3
	v_cndmask_b32_e32 v3, v3, v12, vcc
	v_subrev_u32_e32 v12, s6, v3
	v_cmp_le_u32_e32 vcc, s6, v3
	v_cndmask_b32_e32 v12, v3, v12, vcc
.LBB19_16:                              ;   in Loop: Header=BB19_4 Depth=1
	s_or_b64 exec, exec, s[0:1]
	v_mad_u64_u32 v[16:17], s[0:1], s67, v10, v[0:1]
	v_mul_lo_u32 v3, s67, v11
	v_mul_lo_u32 v14, s68, v10
	v_add3_u32 v17, v14, v17, v3
	v_or_b32_e32 v3, s13, v17
	v_cmp_ne_u64_e32 vcc, 0, v[2:3]
                                        ; implicit-def: $vgpr14_vgpr15
	s_and_saveexec_b64 s[0:1], vcc
	s_xor_b64 s[2:3], exec, s[0:1]
	s_cbranch_execz .LBB19_18
; %bb.17:                               ;   in Loop: Header=BB19_4 Depth=1
	s_ashr_i32 s42, s13, 31
	s_add_u32 s0, s12, s42
	s_mov_b32 s43, s42
	s_addc_u32 s1, s13, s42
	s_xor_b64 s[44:45], s[0:1], s[42:43]
	v_cvt_f32_u32_e32 v3, s44
	v_cvt_f32_u32_e32 v14, s45
	s_sub_u32 s0, 0, s44
	s_subb_u32 s1, 0, s45
	v_mac_f32_e32 v3, 0x4f800000, v14
	v_rcp_f32_e32 v3, v3
	v_mul_f32_e32 v3, 0x5f7ffffc, v3
	v_mul_f32_e32 v14, 0x2f800000, v3
	v_trunc_f32_e32 v14, v14
	v_mac_f32_e32 v3, 0xcf800000, v14
	v_cvt_u32_f32_e32 v14, v14
	v_cvt_u32_f32_e32 v3, v3
	v_mul_lo_u32 v15, s0, v14
	v_mul_hi_u32 v19, s0, v3
	v_mul_lo_u32 v18, s1, v3
	v_add_u32_e32 v15, v19, v15
	v_mul_lo_u32 v20, s0, v3
	v_add_u32_e32 v15, v15, v18
	v_mul_lo_u32 v19, v3, v15
	v_mul_hi_u32 v21, v3, v20
	v_mul_hi_u32 v18, v3, v15
	v_add_co_u32_e32 v19, vcc, v21, v19
	v_addc_co_u32_e32 v18, vcc, 0, v18, vcc
	v_mul_hi_u32 v22, v14, v20
	v_mul_lo_u32 v20, v14, v20
	v_add_co_u32_e32 v19, vcc, v19, v20
	v_mul_hi_u32 v21, v14, v15
	v_addc_co_u32_e32 v18, vcc, v18, v22, vcc
	v_addc_co_u32_e32 v19, vcc, 0, v21, vcc
	v_mul_lo_u32 v15, v14, v15
	v_add_co_u32_e32 v15, vcc, v18, v15
	v_addc_co_u32_e32 v18, vcc, 0, v19, vcc
	v_add_co_u32_e32 v3, vcc, v3, v15
	v_addc_co_u32_e32 v14, vcc, v14, v18, vcc
	v_mul_lo_u32 v15, s0, v14
	v_mul_hi_u32 v18, s0, v3
	v_add_u32_e32 v15, v18, v15
	v_mul_lo_u32 v18, s1, v3
	v_add_u32_e32 v15, v15, v18
	v_mul_lo_u32 v19, s0, v3
	v_mul_hi_u32 v20, v14, v19
	v_mul_lo_u32 v21, v14, v19
	v_mul_lo_u32 v23, v3, v15
	v_mul_hi_u32 v19, v3, v19
	v_mul_hi_u32 v22, v3, v15
	v_add_co_u32_e32 v19, vcc, v19, v23
	v_addc_co_u32_e32 v22, vcc, 0, v22, vcc
	v_add_co_u32_e32 v19, vcc, v19, v21
	v_mul_hi_u32 v18, v14, v15
	v_addc_co_u32_e32 v19, vcc, v22, v20, vcc
	v_addc_co_u32_e32 v18, vcc, 0, v18, vcc
	v_mul_lo_u32 v15, v14, v15
	v_add_co_u32_e32 v15, vcc, v19, v15
	v_addc_co_u32_e32 v18, vcc, 0, v18, vcc
	v_add_co_u32_e32 v3, vcc, v3, v15
	v_addc_co_u32_e32 v18, vcc, v14, v18, vcc
	v_ashrrev_i32_e32 v19, 31, v17
	v_add_co_u32_e32 v14, vcc, v16, v19
	v_addc_co_u32_e32 v15, vcc, v17, v19, vcc
	v_xor_b32_e32 v21, v14, v19
	v_xor_b32_e32 v20, v15, v19
	v_mad_u64_u32 v[14:15], s[0:1], v21, v18, 0
	v_mul_hi_u32 v16, v21, v3
	v_add_co_u32_e32 v22, vcc, v16, v14
	v_addc_co_u32_e32 v23, vcc, 0, v15, vcc
	v_mad_u64_u32 v[16:17], s[0:1], v20, v3, 0
	v_add_co_u32_e32 v3, vcc, v22, v16
	v_mad_u64_u32 v[14:15], s[0:1], v20, v18, 0
	v_addc_co_u32_e32 v3, vcc, v23, v17, vcc
	v_addc_co_u32_e32 v15, vcc, 0, v15, vcc
	v_add_co_u32_e32 v3, vcc, v3, v14
	v_addc_co_u32_e32 v16, vcc, 0, v15, vcc
	v_mul_lo_u32 v17, s45, v3
	v_mul_lo_u32 v18, s44, v16
	v_mad_u64_u32 v[14:15], s[0:1], s44, v3, 0
	v_add3_u32 v15, v15, v18, v17
	v_sub_u32_e32 v17, v20, v15
	v_mov_b32_e32 v18, s45
	v_sub_co_u32_e32 v14, vcc, v21, v14
	v_subb_co_u32_e64 v17, s[0:1], v17, v18, vcc
	v_subrev_co_u32_e64 v18, s[0:1], s44, v14
	v_subbrev_co_u32_e64 v17, s[0:1], 0, v17, s[0:1]
	v_cmp_le_u32_e64 s[0:1], s45, v17
	v_cndmask_b32_e64 v21, 0, -1, s[0:1]
	v_cmp_le_u32_e64 s[0:1], s44, v18
	v_cndmask_b32_e64 v18, 0, -1, s[0:1]
	v_cmp_eq_u32_e64 s[0:1], s45, v17
	v_cndmask_b32_e64 v17, v21, v18, s[0:1]
	v_add_co_u32_e64 v18, s[0:1], 2, v3
	v_subb_co_u32_e32 v15, vcc, v20, v15, vcc
	v_addc_co_u32_e64 v21, s[0:1], 0, v16, s[0:1]
	v_cmp_le_u32_e32 vcc, s45, v15
	v_add_co_u32_e64 v22, s[0:1], 1, v3
	v_cndmask_b32_e64 v20, 0, -1, vcc
	v_cmp_le_u32_e32 vcc, s44, v14
	v_addc_co_u32_e64 v23, s[0:1], 0, v16, s[0:1]
	v_cndmask_b32_e64 v14, 0, -1, vcc
	v_cmp_eq_u32_e32 vcc, s45, v15
	v_cmp_ne_u32_e64 s[0:1], 0, v17
	v_cndmask_b32_e32 v14, v20, v14, vcc
	v_cmp_ne_u32_e32 vcc, 0, v14
	v_cndmask_b32_e64 v15, v22, v18, s[0:1]
	v_cndmask_b32_e64 v17, v23, v21, s[0:1]
	v_cndmask_b32_e32 v3, v3, v15, vcc
	v_xor_b32_e32 v15, s42, v19
	v_cndmask_b32_e32 v14, v16, v17, vcc
	v_xor_b32_e32 v3, v3, v15
	v_xor_b32_e32 v16, v14, v15
	v_sub_co_u32_e32 v14, vcc, v3, v15
	v_subb_co_u32_e32 v15, vcc, v16, v15, vcc
                                        ; implicit-def: $vgpr16_vgpr17
.LBB19_18:                              ;   in Loop: Header=BB19_4 Depth=1
	s_andn2_saveexec_b64 s[0:1], s[2:3]
	s_cbranch_execz .LBB19_20
; %bb.19:                               ;   in Loop: Header=BB19_4 Depth=1
	v_cvt_f32_u32_e32 v3, s12
	s_sub_i32 s2, 0, s12
	v_rcp_iflag_f32_e32 v3, v3
	v_mul_f32_e32 v3, 0x4f7ffffe, v3
	v_cvt_u32_f32_e32 v3, v3
	v_mul_lo_u32 v14, s2, v3
	v_mul_hi_u32 v14, v3, v14
	v_add_u32_e32 v3, v3, v14
	v_mul_hi_u32 v3, v16, v3
	v_mul_lo_u32 v14, v3, s12
	v_sub_u32_e32 v14, v16, v14
	v_add_u32_e32 v15, 1, v3
	v_subrev_u32_e32 v16, s12, v14
	v_cmp_le_u32_e32 vcc, s12, v14
	v_cndmask_b32_e32 v14, v14, v16, vcc
	v_cndmask_b32_e32 v3, v3, v15, vcc
	v_add_u32_e32 v15, 1, v3
	v_cmp_le_u32_e32 vcc, s12, v14
	v_cndmask_b32_e32 v14, v3, v15, vcc
	v_mov_b32_e32 v15, v2
.LBB19_20:                              ;   in Loop: Header=BB19_4 Depth=1
	s_or_b64 exec, exec, s[0:1]
	v_mul_lo_u32 v3, v11, s50
	v_mul_lo_u32 v18, v10, s33
	v_mad_u64_u32 v[16:17], s[0:1], v10, s50, 0
	v_add3_u32 v3, v17, v18, v3
	v_sub_co_u32_e32 v18, vcc, v0, v16
	v_subb_co_u32_e32 v3, vcc, v1, v3, vcc
	v_mul_lo_u32 v19, v15, s12
	v_mul_lo_u32 v20, v14, s13
	v_mad_u64_u32 v[16:17], s[0:1], v14, s12, 0
	v_add3_u32 v17, v17, v20, v19
	v_sub_co_u32_e32 v24, vcc, v18, v16
	v_subb_co_u32_e32 v25, vcc, v3, v17, vcc
	;; [unrolled: 6-line block ×3, first 2 shown]
	v_mul_lo_u32 v20, s13, v3
	v_mul_lo_u32 v21, s12, v22
	v_mad_u64_u32 v[16:17], s[0:1], s12, v3, 0
	v_mad_u64_u32 v[18:19], s[0:1], s12, v3, v[0:1]
	v_add3_u32 v17, v17, v21, v20
	v_add3_u32 v19, v20, v19, v21
	v_cmp_lt_i64_e32 vcc, 0, v[14:15]
	v_cmp_ge_i64_e64 s[0:1], s[18:19], v[14:15]
	s_and_b64 s[46:47], vcc, s[0:1]
	v_cmp_eq_u64_e32 vcc, v[16:17], v[4:5]
	v_cmp_lt_i64_e64 s[0:1], s[4:5], v[18:19]
	s_or_b64 s[42:43], vcc, s[0:1]
	v_cmp_gt_i64_e32 vcc, s[28:29], v[18:19]
	v_cmp_le_i64_e64 s[0:1], s[30:31], v[18:19]
	s_and_b64 s[2:3], vcc, s[0:1]
	v_mov_b32_e32 v23, 0
	s_and_saveexec_b64 s[44:45], s[46:47]
	s_cbranch_execz .LBB19_30
; %bb.21:                               ;   in Loop: Header=BB19_4 Depth=1
	v_mov_b32_e32 v18, s19
	v_sub_co_u32_e32 v20, vcc, s18, v14
	v_subb_co_u32_e32 v18, vcc, v18, v15, vcc
	v_mov_b32_e32 v21, s5
	v_add_co_u32_e32 v23, vcc, s4, v0
	v_mul_lo_u32 v26, v18, s51
	v_mul_lo_u32 v27, v20, s52
	v_mad_u64_u32 v[18:19], s[0:1], v20, s51, v[16:17]
	v_addc_co_u32_e32 v21, vcc, v21, v1, vcc
	v_add3_u32 v19, v26, v19, v27
	v_add_co_u32_e32 v18, vcc, v23, v18
	v_addc_co_u32_e32 v19, vcc, v21, v19, vcc
	v_cmp_gt_i64_e32 vcc, s[20:21], v[18:19]
	v_mov_b32_e32 v23, 0
	s_and_saveexec_b64 s[0:1], vcc
	s_cbranch_execz .LBB19_23
; %bb.22:                               ;   in Loop: Header=BB19_4 Depth=1
	v_mul_lo_u32 v21, s55, v8
	v_mul_lo_u32 v23, s56, v9
	v_mad_u64_u32 v[28:29], s[46:47], s56, v8, 0
	v_add3_u32 v29, v29, v23, v21
	v_mul_lo_u32 v21, v13, s20
	v_mul_lo_u32 v23, v12, s21
	v_mad_u64_u32 v[30:31], s[46:47], v12, s20, 0
	v_lshlrev_b64 v[28:29], 1, v[28:29]
	v_add3_u32 v31, v31, v23, v21
	v_mov_b32_e32 v21, s11
	v_add_co_u32_e32 v23, vcc, s10, v28
	v_addc_co_u32_e32 v21, vcc, v21, v29, vcc
	v_lshlrev_b64 v[28:29], 1, v[30:31]
	v_add_co_u32_e32 v23, vcc, v23, v28
	v_addc_co_u32_e32 v21, vcc, v21, v29, vcc
	v_lshlrev_b64 v[18:19], 1, v[18:19]
	v_add_co_u32_e32 v18, vcc, v23, v18
	v_addc_co_u32_e32 v19, vcc, v21, v19, vcc
	global_load_ushort v18, v[18:19], off
	s_waitcnt vmcnt(0)
	v_add_f16_e32 v23, 0, v18
.LBB19_23:                              ;   in Loop: Header=BB19_4 Depth=1
	s_or_b64 exec, exec, s[0:1]
	v_mad_u64_u32 v[20:21], s[0:1], v20, s51, 0
	v_add3_u32 v21, v21, v27, v26
	s_mov_b64 s[48:49], 0
                                        ; implicit-def: $vgpr18_vgpr19
	s_and_saveexec_b64 s[0:1], s[42:43]
	s_xor_b64 s[46:47], exec, s[0:1]
	s_cbranch_execz .LBB19_49
; %bb.24:                               ;   in Loop: Header=BB19_4 Depth=1
	s_mov_b64 s[0:1], 0
                                        ; implicit-def: $vgpr18_vgpr19
	s_and_saveexec_b64 s[48:49], s[2:3]
	s_xor_b64 s[48:49], exec, s[48:49]
	s_cbranch_execz .LBB19_26
; %bb.25:                               ;   in Loop: Header=BB19_4 Depth=1
	v_mov_b32_e32 v18, s58
	v_sub_co_u32_e32 v19, vcc, s57, v24
	v_subb_co_u32_e32 v26, vcc, v18, v25, vcc
	v_add_co_u32_e32 v18, vcc, v19, v20
	v_addc_co_u32_e32 v19, vcc, v26, v21, vcc
	v_mad_u64_u32 v[26:27], s[0:1], s14, v10, v[14:15]
	v_mul_lo_u32 v28, s14, v11
	v_mul_lo_u32 v29, s15, v10
	v_add3_u32 v27, v29, v27, v28
	v_add_co_u32_e32 v26, vcc, 2, v26
	v_addc_co_u32_e32 v27, vcc, 0, v27, vcc
	v_mul_lo_u32 v27, s12, v27
	v_mul_lo_u32 v28, s13, v26
	v_mad_u64_u32 v[20:21], s[0:1], s12, v26, v[20:21]
	v_add3_u32 v21, v28, v21, v27
	v_mov_b32_e32 v26, s5
	v_add_co_u32_e32 v27, vcc, s4, v4
	v_addc_co_u32_e32 v26, vcc, v26, v5, vcc
	v_add_co_u32_e32 v20, vcc, v27, v20
	v_addc_co_u32_e32 v21, vcc, v26, v21, vcc
	v_add_co_u32_e32 v20, vcc, -2, v20
	v_addc_co_u32_e32 v21, vcc, -1, v21, vcc
	v_cmp_lt_i64_e32 vcc, -1, v[20:21]
	v_cmp_gt_i64_e64 s[0:1], s[20:21], v[20:21]
	s_and_b64 s[0:1], vcc, s[0:1]
	s_and_b64 s[0:1], s[0:1], exec
.LBB19_26:                              ;   in Loop: Header=BB19_4 Depth=1
	s_or_b64 exec, exec, s[48:49]
	s_and_b64 s[48:49], s[0:1], exec
                                        ; implicit-def: $vgpr20_vgpr21
	s_andn2_saveexec_b64 s[46:47], s[46:47]
	s_cbranch_execnz .LBB19_50
.LBB19_27:                              ;   in Loop: Header=BB19_4 Depth=1
	s_or_b64 exec, exec, s[46:47]
	s_and_saveexec_b64 s[0:1], s[48:49]
	s_cbranch_execz .LBB19_29
.LBB19_28:                              ;   in Loop: Header=BB19_4 Depth=1
	v_mul_lo_u32 v26, s55, v8
	v_mul_lo_u32 v27, s56, v9
	v_mad_u64_u32 v[20:21], s[46:47], s56, v8, 0
	v_add3_u32 v21, v21, v27, v26
	v_mul_lo_u32 v28, v13, s20
	v_mul_lo_u32 v29, v12, s21
	v_mad_u64_u32 v[26:27], s[46:47], v12, s20, 0
	v_lshlrev_b64 v[20:21], 1, v[20:21]
	v_add3_u32 v27, v27, v29, v28
	v_mov_b32_e32 v28, s11
	v_add_co_u32_e32 v29, vcc, s10, v20
	v_addc_co_u32_e32 v28, vcc, v28, v21, vcc
	v_lshlrev_b64 v[20:21], 1, v[26:27]
	v_add_co_u32_e32 v20, vcc, v29, v20
	v_addc_co_u32_e32 v21, vcc, v28, v21, vcc
	v_lshlrev_b64 v[18:19], 1, v[18:19]
	v_add_co_u32_e32 v18, vcc, v20, v18
	v_addc_co_u32_e32 v19, vcc, v21, v19, vcc
	global_load_ushort v18, v[18:19], off
	s_waitcnt vmcnt(0)
	v_add_f16_e32 v23, v23, v18
.LBB19_29:                              ;   in Loop: Header=BB19_4 Depth=1
	s_or_b64 exec, exec, s[0:1]
.LBB19_30:                              ;   in Loop: Header=BB19_4 Depth=1
	s_or_b64 exec, exec, s[44:45]
	v_cmp_gt_i64_e32 vcc, s[24:25], v[14:15]
	v_cmp_le_i64_e64 s[0:1], s[26:27], v[14:15]
	s_and_b64 s[0:1], vcc, s[0:1]
	s_and_saveexec_b64 s[44:45], s[0:1]
	s_cbranch_execz .LBB19_40
; %bb.31:                               ;   in Loop: Header=BB19_4 Depth=1
	v_mov_b32_e32 v18, s60
	v_sub_co_u32_e32 v20, vcc, s59, v14
	v_subb_co_u32_e32 v18, vcc, v18, v15, vcc
	v_mov_b32_e32 v21, s5
	v_add_co_u32_e32 v28, vcc, s4, v0
	v_mul_lo_u32 v26, s52, v20
	v_mul_lo_u32 v27, s51, v18
	v_mad_u64_u32 v[18:19], s[0:1], s51, v20, v[16:17]
	v_addc_co_u32_e32 v21, vcc, v21, v1, vcc
	v_add3_u32 v19, v26, v19, v27
	v_add_co_u32_e32 v18, vcc, v28, v18
	v_addc_co_u32_e32 v19, vcc, v21, v19, vcc
	v_cmp_lt_i64_e32 vcc, -1, v[18:19]
	v_cmp_gt_i64_e64 s[0:1], s[20:21], v[18:19]
	s_and_b64 s[46:47], vcc, s[0:1]
	s_and_saveexec_b64 s[0:1], s[46:47]
	s_cbranch_execz .LBB19_33
; %bb.32:                               ;   in Loop: Header=BB19_4 Depth=1
	v_mul_lo_u32 v21, s55, v8
	v_mul_lo_u32 v30, s56, v9
	v_mad_u64_u32 v[28:29], s[46:47], s56, v8, 0
	v_add3_u32 v29, v29, v30, v21
	v_mul_lo_u32 v21, v13, s20
	v_mul_lo_u32 v32, v12, s21
	v_mad_u64_u32 v[30:31], s[46:47], v12, s20, 0
	v_lshlrev_b64 v[28:29], 1, v[28:29]
	v_add3_u32 v31, v31, v32, v21
	v_mov_b32_e32 v21, s11
	v_add_co_u32_e32 v32, vcc, s10, v28
	v_addc_co_u32_e32 v21, vcc, v21, v29, vcc
	v_lshlrev_b64 v[28:29], 1, v[30:31]
	v_add_co_u32_e32 v28, vcc, v32, v28
	v_addc_co_u32_e32 v21, vcc, v21, v29, vcc
	v_lshlrev_b64 v[18:19], 1, v[18:19]
	v_add_co_u32_e32 v18, vcc, v28, v18
	v_addc_co_u32_e32 v19, vcc, v21, v19, vcc
	global_load_ushort v18, v[18:19], off
	s_waitcnt vmcnt(0)
	v_add_f16_e32 v23, v23, v18
.LBB19_33:                              ;   in Loop: Header=BB19_4 Depth=1
	s_or_b64 exec, exec, s[0:1]
	v_mad_u64_u32 v[20:21], s[0:1], s51, v20, 0
	v_add3_u32 v21, v21, v27, v26
	s_mov_b64 s[48:49], 0
                                        ; implicit-def: $vgpr18_vgpr19
	s_and_saveexec_b64 s[0:1], s[42:43]
	s_xor_b64 s[46:47], exec, s[0:1]
	s_cbranch_execz .LBB19_51
; %bb.34:                               ;   in Loop: Header=BB19_4 Depth=1
	s_mov_b64 s[0:1], 0
                                        ; implicit-def: $vgpr18_vgpr19
	s_and_saveexec_b64 s[48:49], s[2:3]
	s_xor_b64 s[48:49], exec, s[48:49]
	s_cbranch_execz .LBB19_36
; %bb.35:                               ;   in Loop: Header=BB19_4 Depth=1
	v_mov_b32_e32 v18, s62
	v_add_co_u32_e32 v19, vcc, s61, v20
	v_addc_co_u32_e32 v26, vcc, v18, v21, vcc
	v_sub_co_u32_e32 v18, vcc, v19, v24
	v_subb_co_u32_e32 v19, vcc, v26, v25, vcc
	v_mad_u64_u32 v[24:25], s[0:1], s14, v10, v[14:15]
	v_mul_lo_u32 v26, s14, v11
	v_mul_lo_u32 v27, s15, v10
	v_add3_u32 v25, v27, v25, v26
	v_add_co_u32_e32 v24, vcc, 2, v24
	v_addc_co_u32_e32 v25, vcc, 0, v25, vcc
	v_mul_lo_u32 v25, s12, v25
	v_mul_lo_u32 v26, s13, v24
	v_mad_u64_u32 v[20:21], s[0:1], s12, v24, v[20:21]
	v_add3_u32 v21, v26, v21, v25
	v_mov_b32_e32 v24, s5
	v_add_co_u32_e32 v25, vcc, s4, v4
	v_addc_co_u32_e32 v24, vcc, v24, v5, vcc
	v_add_co_u32_e32 v20, vcc, v25, v20
	v_addc_co_u32_e32 v21, vcc, v24, v21, vcc
	v_add_co_u32_e32 v20, vcc, -2, v20
	v_addc_co_u32_e32 v21, vcc, -1, v21, vcc
	v_cmp_lt_i64_e32 vcc, -1, v[20:21]
	v_cmp_gt_i64_e64 s[0:1], s[20:21], v[20:21]
	s_and_b64 s[0:1], vcc, s[0:1]
	s_and_b64 s[0:1], s[0:1], exec
.LBB19_36:                              ;   in Loop: Header=BB19_4 Depth=1
	s_or_b64 exec, exec, s[48:49]
	s_and_b64 s[48:49], s[0:1], exec
                                        ; implicit-def: $vgpr20_vgpr21
	s_andn2_saveexec_b64 s[46:47], s[46:47]
	s_cbranch_execnz .LBB19_52
.LBB19_37:                              ;   in Loop: Header=BB19_4 Depth=1
	s_or_b64 exec, exec, s[46:47]
	s_and_saveexec_b64 s[0:1], s[48:49]
	s_cbranch_execz .LBB19_39
.LBB19_38:                              ;   in Loop: Header=BB19_4 Depth=1
	v_mul_lo_u32 v24, s55, v8
	v_mul_lo_u32 v25, s56, v9
	v_mad_u64_u32 v[20:21], s[46:47], s56, v8, 0
	v_add3_u32 v21, v21, v25, v24
	v_mul_lo_u32 v26, v13, s20
	v_mul_lo_u32 v27, v12, s21
	v_mad_u64_u32 v[24:25], s[46:47], v12, s20, 0
	v_lshlrev_b64 v[20:21], 1, v[20:21]
	v_add3_u32 v25, v25, v27, v26
	v_mov_b32_e32 v26, s11
	v_add_co_u32_e32 v27, vcc, s10, v20
	v_addc_co_u32_e32 v26, vcc, v26, v21, vcc
	v_lshlrev_b64 v[20:21], 1, v[24:25]
	v_add_co_u32_e32 v20, vcc, v27, v20
	v_addc_co_u32_e32 v21, vcc, v26, v21, vcc
	v_lshlrev_b64 v[18:19], 1, v[18:19]
	v_add_co_u32_e32 v18, vcc, v20, v18
	v_addc_co_u32_e32 v19, vcc, v21, v19, vcc
	global_load_ushort v18, v[18:19], off
	s_waitcnt vmcnt(0)
	v_add_f16_e32 v23, v23, v18
.LBB19_39:                              ;   in Loop: Header=BB19_4 Depth=1
	s_or_b64 exec, exec, s[0:1]
.LBB19_40:                              ;   in Loop: Header=BB19_4 Depth=1
	s_or_b64 exec, exec, s[44:45]
                                        ; implicit-def: $vgpr18_vgpr19
	s_and_saveexec_b64 s[0:1], s[42:43]
	s_xor_b64 s[0:1], exec, s[0:1]
	s_cbranch_execz .LBB19_43
; %bb.41:                               ;   in Loop: Header=BB19_4 Depth=1
	v_mov_b32_e32 v16, s19
	v_add_co_u32_e32 v17, vcc, s18, v14
	v_addc_co_u32_e32 v16, vcc, v15, v16, vcc
	v_mul_lo_u32 v16, v16, s51
	v_mul_lo_u32 v20, v17, s52
	v_mad_u64_u32 v[18:19], s[42:43], v17, s51, 0
	v_add3_u32 v19, v19, v20, v16
                                        ; implicit-def: $vgpr16_vgpr17
	s_andn2_saveexec_b64 s[42:43], s[0:1]
	s_cbranch_execnz .LBB19_44
.LBB19_42:                              ;   in Loop: Header=BB19_4 Depth=1
	s_or_b64 exec, exec, s[42:43]
	s_and_saveexec_b64 s[42:43], s[2:3]
	s_cbranch_execz .LBB19_3
	s_branch .LBB19_47
.LBB19_43:                              ;   in Loop: Header=BB19_4 Depth=1
	s_andn2_saveexec_b64 s[42:43], s[0:1]
	s_cbranch_execz .LBB19_42
.LBB19_44:                              ;   in Loop: Header=BB19_4 Depth=1
	v_mov_b32_e32 v18, s19
	v_add_co_u32_e32 v19, vcc, s18, v14
	v_addc_co_u32_e32 v18, vcc, v15, v18, vcc
	v_mul_lo_u32 v20, v18, s51
	v_mul_lo_u32 v21, v19, s52
	v_mad_u64_u32 v[18:19], s[0:1], v19, s51, 0
	v_add3_u32 v19, v19, v21, v20
	v_sub_co_u32_e32 v16, vcc, v18, v16
	v_subb_co_u32_e32 v17, vcc, v19, v17, vcc
	v_mov_b32_e32 v20, s5
	v_add_co_u32_e32 v21, vcc, s4, v4
	v_addc_co_u32_e32 v20, vcc, v20, v5, vcc
	v_add_co_u32_e32 v16, vcc, v21, v16
	v_addc_co_u32_e32 v17, vcc, v20, v17, vcc
	v_cmp_lt_i64_e32 vcc, -1, v[16:17]
	v_cmp_gt_i64_e64 s[0:1], s[20:21], v[16:17]
	s_and_b64 s[44:45], vcc, s[0:1]
	s_and_saveexec_b64 s[0:1], s[44:45]
	s_cbranch_execz .LBB19_46
; %bb.45:                               ;   in Loop: Header=BB19_4 Depth=1
	v_mul_lo_u32 v24, s55, v8
	v_mul_lo_u32 v25, s56, v9
	v_mad_u64_u32 v[20:21], s[44:45], s56, v8, 0
	v_add3_u32 v21, v21, v25, v24
	v_mul_lo_u32 v26, v13, s20
	v_mul_lo_u32 v27, v12, s21
	v_mad_u64_u32 v[24:25], s[44:45], v12, s20, 0
	v_lshlrev_b64 v[20:21], 1, v[20:21]
	v_add3_u32 v25, v25, v27, v26
	v_mov_b32_e32 v26, s11
	v_add_co_u32_e32 v27, vcc, s10, v20
	v_addc_co_u32_e32 v26, vcc, v26, v21, vcc
	v_lshlrev_b64 v[20:21], 1, v[24:25]
	v_add_co_u32_e32 v20, vcc, v27, v20
	v_addc_co_u32_e32 v21, vcc, v26, v21, vcc
	v_lshlrev_b64 v[16:17], 1, v[16:17]
	v_add_co_u32_e32 v16, vcc, v20, v16
	v_addc_co_u32_e32 v17, vcc, v21, v17, vcc
	global_load_ushort v16, v[16:17], off
	s_waitcnt vmcnt(0)
	v_add_f16_e32 v23, v23, v16
.LBB19_46:                              ;   in Loop: Header=BB19_4 Depth=1
	s_or_b64 exec, exec, s[0:1]
	s_or_b64 exec, exec, s[42:43]
	s_and_saveexec_b64 s[42:43], s[2:3]
	s_cbranch_execz .LBB19_3
.LBB19_47:                              ;   in Loop: Header=BB19_4 Depth=1
	v_mad_u64_u32 v[14:15], s[0:1], s14, v10, v[14:15]
	v_mul_lo_u32 v11, s14, v11
	v_mul_lo_u32 v10, s15, v10
	v_add3_u32 v10, v10, v15, v11
	v_add_co_u32_e32 v11, vcc, 2, v14
	v_addc_co_u32_e32 v10, vcc, 0, v10, vcc
	v_mul_lo_u32 v14, s12, v10
	v_mul_lo_u32 v15, s13, v11
	v_mad_u64_u32 v[10:11], s[0:1], s12, v11, v[18:19]
	v_add3_u32 v11, v15, v11, v14
	v_mov_b32_e32 v14, s5
	v_add_co_u32_e32 v15, vcc, s4, v4
	v_addc_co_u32_e32 v14, vcc, v14, v5, vcc
	v_add_co_u32_e32 v10, vcc, v15, v10
	v_addc_co_u32_e32 v11, vcc, v14, v11, vcc
	v_add_co_u32_e32 v10, vcc, -2, v10
	v_addc_co_u32_e32 v11, vcc, -1, v11, vcc
	v_cmp_lt_i64_e32 vcc, -1, v[10:11]
	v_cmp_gt_i64_e64 s[0:1], s[20:21], v[10:11]
	s_and_b64 s[2:3], vcc, s[0:1]
	s_and_saveexec_b64 s[0:1], s[2:3]
	s_cbranch_execz .LBB19_2
; %bb.48:                               ;   in Loop: Header=BB19_4 Depth=1
	v_mul_lo_u32 v16, s55, v8
	v_mul_lo_u32 v17, s56, v9
	v_mad_u64_u32 v[14:15], s[2:3], s56, v8, 0
	v_add3_u32 v15, v15, v17, v16
	v_mul_lo_u32 v20, v13, s20
	v_mul_lo_u32 v21, v12, s21
	v_mad_u64_u32 v[16:17], s[2:3], v12, s20, 0
	v_lshlrev_b64 v[14:15], 1, v[14:15]
	v_add3_u32 v17, v17, v21, v20
	v_mov_b32_e32 v20, s11
	v_add_co_u32_e32 v21, vcc, s10, v14
	v_addc_co_u32_e32 v20, vcc, v20, v15, vcc
	v_lshlrev_b64 v[14:15], 1, v[16:17]
	v_add_co_u32_e32 v14, vcc, v21, v14
	v_addc_co_u32_e32 v15, vcc, v20, v15, vcc
	v_lshlrev_b64 v[10:11], 1, v[10:11]
	v_add_co_u32_e32 v10, vcc, v14, v10
	v_addc_co_u32_e32 v11, vcc, v15, v11, vcc
	global_load_ushort v10, v[10:11], off
	s_waitcnt vmcnt(0)
	v_add_f16_e32 v23, v23, v10
	s_branch .LBB19_2
.LBB19_49:                              ;   in Loop: Header=BB19_4 Depth=1
	s_andn2_saveexec_b64 s[46:47], s[46:47]
	s_cbranch_execz .LBB19_27
.LBB19_50:                              ;   in Loop: Header=BB19_4 Depth=1
	v_sub_co_u32_e32 v18, vcc, v20, v16
	v_subb_co_u32_e32 v19, vcc, v21, v17, vcc
	v_mov_b32_e32 v20, s5
	v_add_co_u32_e32 v21, vcc, s4, v4
	v_addc_co_u32_e32 v20, vcc, v20, v5, vcc
	v_add_co_u32_e32 v18, vcc, v21, v18
	v_addc_co_u32_e32 v19, vcc, v20, v19, vcc
	v_cmp_lt_i64_e32 vcc, -1, v[18:19]
	v_cmp_gt_i64_e64 s[0:1], s[20:21], v[18:19]
	s_and_b64 s[0:1], vcc, s[0:1]
	s_andn2_b64 s[48:49], s[48:49], exec
	s_and_b64 s[0:1], s[0:1], exec
	s_or_b64 s[48:49], s[48:49], s[0:1]
	s_or_b64 exec, exec, s[46:47]
	s_and_saveexec_b64 s[0:1], s[48:49]
	s_cbranch_execnz .LBB19_28
	s_branch .LBB19_29
.LBB19_51:                              ;   in Loop: Header=BB19_4 Depth=1
	s_andn2_saveexec_b64 s[46:47], s[46:47]
	s_cbranch_execz .LBB19_37
.LBB19_52:                              ;   in Loop: Header=BB19_4 Depth=1
	v_sub_co_u32_e32 v18, vcc, v20, v16
	v_subb_co_u32_e32 v19, vcc, v21, v17, vcc
	v_mov_b32_e32 v20, s5
	v_add_co_u32_e32 v21, vcc, s4, v4
	v_addc_co_u32_e32 v20, vcc, v20, v5, vcc
	v_add_co_u32_e32 v18, vcc, v21, v18
	v_addc_co_u32_e32 v19, vcc, v20, v19, vcc
	v_cmp_lt_i64_e32 vcc, -1, v[18:19]
	v_cmp_gt_i64_e64 s[0:1], s[20:21], v[18:19]
	s_and_b64 s[0:1], vcc, s[0:1]
	s_andn2_b64 s[48:49], s[48:49], exec
	s_and_b64 s[0:1], s[0:1], exec
	s_or_b64 s[48:49], s[48:49], s[0:1]
	s_or_b64 exec, exec, s[46:47]
	s_and_saveexec_b64 s[0:1], s[48:49]
	s_cbranch_execnz .LBB19_38
	s_branch .LBB19_39
.LBB19_53:
	s_endpgm
	.section	.rodata,"a",@progbits
	.p2align	6, 0x0
	.amdhsa_kernel _ZN2at6native12_GLOBAL__N_140reflection_pad2d_backward_det_out_kernelIN3c104HalfEEEvPT_PKS5_lliiiiiii
		.amdhsa_group_segment_fixed_size 0
		.amdhsa_private_segment_fixed_size 0
		.amdhsa_kernarg_size 320
		.amdhsa_user_sgpr_count 6
		.amdhsa_user_sgpr_private_segment_buffer 1
		.amdhsa_user_sgpr_dispatch_ptr 0
		.amdhsa_user_sgpr_queue_ptr 0
		.amdhsa_user_sgpr_kernarg_segment_ptr 1
		.amdhsa_user_sgpr_dispatch_id 0
		.amdhsa_user_sgpr_flat_scratch_init 0
		.amdhsa_user_sgpr_kernarg_preload_length 0
		.amdhsa_user_sgpr_kernarg_preload_offset 0
		.amdhsa_user_sgpr_private_segment_size 0
		.amdhsa_uses_dynamic_stack 0
		.amdhsa_system_sgpr_private_segment_wavefront_offset 0
		.amdhsa_system_sgpr_workgroup_id_x 1
		.amdhsa_system_sgpr_workgroup_id_y 0
		.amdhsa_system_sgpr_workgroup_id_z 0
		.amdhsa_system_sgpr_workgroup_info 0
		.amdhsa_system_vgpr_workitem_id 0
		.amdhsa_next_free_vgpr 33
		.amdhsa_next_free_sgpr 69
		.amdhsa_accum_offset 36
		.amdhsa_reserve_vcc 1
		.amdhsa_reserve_flat_scratch 0
		.amdhsa_float_round_mode_32 0
		.amdhsa_float_round_mode_16_64 0
		.amdhsa_float_denorm_mode_32 3
		.amdhsa_float_denorm_mode_16_64 3
		.amdhsa_dx10_clamp 1
		.amdhsa_ieee_mode 1
		.amdhsa_fp16_overflow 0
		.amdhsa_tg_split 0
		.amdhsa_exception_fp_ieee_invalid_op 0
		.amdhsa_exception_fp_denorm_src 0
		.amdhsa_exception_fp_ieee_div_zero 0
		.amdhsa_exception_fp_ieee_overflow 0
		.amdhsa_exception_fp_ieee_underflow 0
		.amdhsa_exception_fp_ieee_inexact 0
		.amdhsa_exception_int_div_zero 0
	.end_amdhsa_kernel
	.section	.text._ZN2at6native12_GLOBAL__N_140reflection_pad2d_backward_det_out_kernelIN3c104HalfEEEvPT_PKS5_lliiiiiii,"axG",@progbits,_ZN2at6native12_GLOBAL__N_140reflection_pad2d_backward_det_out_kernelIN3c104HalfEEEvPT_PKS5_lliiiiiii,comdat
.Lfunc_end19:
	.size	_ZN2at6native12_GLOBAL__N_140reflection_pad2d_backward_det_out_kernelIN3c104HalfEEEvPT_PKS5_lliiiiiii, .Lfunc_end19-_ZN2at6native12_GLOBAL__N_140reflection_pad2d_backward_det_out_kernelIN3c104HalfEEEvPT_PKS5_lliiiiiii
                                        ; -- End function
	.section	.AMDGPU.csdata,"",@progbits
; Kernel info:
; codeLenInByte = 6084
; NumSgprs: 73
; NumVgprs: 33
; NumAgprs: 0
; TotalNumVgprs: 33
; ScratchSize: 0
; MemoryBound: 0
; FloatMode: 240
; IeeeMode: 1
; LDSByteSize: 0 bytes/workgroup (compile time only)
; SGPRBlocks: 9
; VGPRBlocks: 4
; NumSGPRsForWavesPerEU: 73
; NumVGPRsForWavesPerEU: 33
; AccumOffset: 36
; Occupancy: 8
; WaveLimiterHint : 0
; COMPUTE_PGM_RSRC2:SCRATCH_EN: 0
; COMPUTE_PGM_RSRC2:USER_SGPR: 6
; COMPUTE_PGM_RSRC2:TRAP_HANDLER: 0
; COMPUTE_PGM_RSRC2:TGID_X_EN: 1
; COMPUTE_PGM_RSRC2:TGID_Y_EN: 0
; COMPUTE_PGM_RSRC2:TGID_Z_EN: 0
; COMPUTE_PGM_RSRC2:TIDIG_COMP_CNT: 0
; COMPUTE_PGM_RSRC3_GFX90A:ACCUM_OFFSET: 8
; COMPUTE_PGM_RSRC3_GFX90A:TG_SPLIT: 0
	.section	.text._ZN2at6native12_GLOBAL__N_136reflection_pad2d_backward_out_kernelIN3c104HalfEEEvPT_PKS5_lliiiiiii,"axG",@progbits,_ZN2at6native12_GLOBAL__N_136reflection_pad2d_backward_out_kernelIN3c104HalfEEEvPT_PKS5_lliiiiiii,comdat
	.globl	_ZN2at6native12_GLOBAL__N_136reflection_pad2d_backward_out_kernelIN3c104HalfEEEvPT_PKS5_lliiiiiii ; -- Begin function _ZN2at6native12_GLOBAL__N_136reflection_pad2d_backward_out_kernelIN3c104HalfEEEvPT_PKS5_lliiiiiii
	.p2align	8
	.type	_ZN2at6native12_GLOBAL__N_136reflection_pad2d_backward_out_kernelIN3c104HalfEEEvPT_PKS5_lliiiiiii,@function
_ZN2at6native12_GLOBAL__N_136reflection_pad2d_backward_out_kernelIN3c104HalfEEEvPT_PKS5_lliiiiiii: ; @_ZN2at6native12_GLOBAL__N_136reflection_pad2d_backward_out_kernelIN3c104HalfEEEvPT_PKS5_lliiiiiii
; %bb.0:
	s_load_dword s9, s[4:5], 0x4c
	s_load_dwordx4 s[0:3], s[4:5], 0x20
	s_load_dwordx8 s[12:19], s[4:5], 0x0
	v_mov_b32_e32 v1, 0
	s_waitcnt lgkmcnt(0)
	s_and_b32 s9, s9, 0xffff
	s_ashr_i32 s11, s2, 31
	s_add_u32 s31, s2, s16
	s_mul_i32 s6, s6, s9
	s_mov_b32 s10, s2
	s_addc_u32 s33, s11, s17
	s_ashr_i32 s2, s3, 31
	v_add_u32_e32 v0, s6, v0
	s_add_u32 s6, s31, s3
	s_addc_u32 s3, s33, s2
	s_ashr_i32 s25, s0, 31
	s_add_u32 s34, s0, s18
	s_mov_b32 s24, s0
	s_addc_u32 s35, s25, s19
	s_ashr_i32 s0, s1, 31
	s_add_u32 s9, s34, s1
	s_addc_u32 s30, s35, s0
	s_mul_i32 s0, s6, s30
	s_mul_hi_u32 s1, s6, s9
	s_add_i32 s0, s1, s0
	s_mul_i32 s1, s3, s9
	s_add_i32 s1, s0, s1
	s_mul_i32 s0, s6, s9
	v_cmp_gt_i64_e32 vcc, s[0:1], v[0:1]
	s_and_saveexec_b64 s[0:1], vcc
	s_cbranch_execz .LBB20_10
; %bb.1:
	s_load_dwordx4 s[20:23], s[4:5], 0x30
	s_mov_b32 s2, 0
	s_cmp_lg_u64 s[2:3], 0
	s_cbranch_scc0 .LBB20_11
; %bb.2:
	s_ashr_i32 s26, s3, 31
	s_add_u32 s0, s6, s26
	s_mov_b32 s27, s26
	s_addc_u32 s1, s3, s26
	s_xor_b64 s[28:29], s[0:1], s[26:27]
	v_cvt_f32_u32_e32 v1, s28
	v_cvt_f32_u32_e32 v2, s29
	s_sub_u32 s0, 0, s28
	s_subb_u32 s1, 0, s29
	v_madmk_f32 v1, v2, 0x4f800000, v1
	v_rcp_f32_e32 v1, v1
	v_mul_f32_e32 v1, 0x5f7ffffc, v1
	v_mul_f32_e32 v2, 0x2f800000, v1
	v_trunc_f32_e32 v2, v2
	v_madmk_f32 v1, v2, 0xcf800000, v1
	v_cvt_u32_f32_e32 v2, v2
	v_cvt_u32_f32_e32 v1, v1
	v_mul_lo_u32 v3, s0, v2
	v_mul_hi_u32 v5, s0, v1
	v_mul_lo_u32 v4, s1, v1
	v_add_u32_e32 v3, v5, v3
	v_add_u32_e32 v3, v3, v4
	v_mul_lo_u32 v6, s0, v1
	v_mul_lo_u32 v5, v1, v3
	v_mul_hi_u32 v7, v1, v6
	v_mul_hi_u32 v4, v1, v3
	v_add_co_u32_e32 v5, vcc, v7, v5
	v_addc_co_u32_e32 v4, vcc, 0, v4, vcc
	v_mul_hi_u32 v8, v2, v6
	v_mul_lo_u32 v6, v2, v6
	v_add_co_u32_e32 v5, vcc, v5, v6
	v_mul_hi_u32 v7, v2, v3
	v_addc_co_u32_e32 v4, vcc, v4, v8, vcc
	v_addc_co_u32_e32 v5, vcc, 0, v7, vcc
	v_mul_lo_u32 v3, v2, v3
	v_add_co_u32_e32 v3, vcc, v4, v3
	v_addc_co_u32_e32 v4, vcc, 0, v5, vcc
	v_add_co_u32_e32 v1, vcc, v1, v3
	v_addc_co_u32_e32 v2, vcc, v2, v4, vcc
	v_mul_lo_u32 v3, s0, v2
	v_mul_hi_u32 v4, s0, v1
	v_add_u32_e32 v3, v4, v3
	v_mul_lo_u32 v4, s1, v1
	v_add_u32_e32 v3, v3, v4
	v_mul_lo_u32 v5, s0, v1
	v_mul_hi_u32 v6, v2, v5
	v_mul_lo_u32 v7, v2, v5
	v_mul_lo_u32 v9, v1, v3
	v_mul_hi_u32 v5, v1, v5
	v_mul_hi_u32 v8, v1, v3
	v_add_co_u32_e32 v5, vcc, v5, v9
	v_addc_co_u32_e32 v8, vcc, 0, v8, vcc
	v_add_co_u32_e32 v5, vcc, v5, v7
	v_mul_hi_u32 v4, v2, v3
	v_addc_co_u32_e32 v5, vcc, v8, v6, vcc
	v_addc_co_u32_e32 v4, vcc, 0, v4, vcc
	v_mul_lo_u32 v3, v2, v3
	v_add_co_u32_e32 v3, vcc, v5, v3
	v_addc_co_u32_e32 v4, vcc, 0, v4, vcc
	v_add_co_u32_e32 v1, vcc, v1, v3
	v_addc_co_u32_e32 v4, vcc, v2, v4, vcc
	v_ashrrev_i32_e64 v6, 31, 0
	v_add_co_u32_e32 v2, vcc, v0, v6
	v_addc_co_u32_e32 v3, vcc, 0, v6, vcc
	v_xor_b32_e32 v8, v2, v6
	v_xor_b32_e32 v7, v3, v6
	v_mad_u64_u32 v[2:3], s[0:1], v8, v4, 0
	v_mul_hi_u32 v5, v8, v1
	v_add_co_u32_e32 v9, vcc, v5, v2
	v_addc_co_u32_e32 v10, vcc, 0, v3, vcc
	v_mad_u64_u32 v[2:3], s[0:1], v7, v4, 0
	v_mad_u64_u32 v[4:5], s[0:1], v7, v1, 0
	v_add_co_u32_e32 v1, vcc, v9, v4
	v_addc_co_u32_e32 v1, vcc, v10, v5, vcc
	v_addc_co_u32_e32 v3, vcc, 0, v3, vcc
	v_add_co_u32_e32 v1, vcc, v1, v2
	v_addc_co_u32_e32 v4, vcc, 0, v3, vcc
	v_mul_lo_u32 v5, s29, v1
	v_mul_lo_u32 v9, s28, v4
	v_mad_u64_u32 v[2:3], s[0:1], s28, v1, 0
	v_add3_u32 v3, v3, v9, v5
	v_sub_u32_e32 v5, v7, v3
	v_mov_b32_e32 v9, s29
	v_sub_co_u32_e32 v2, vcc, v8, v2
	v_subb_co_u32_e64 v5, s[0:1], v5, v9, vcc
	v_subrev_co_u32_e64 v8, s[0:1], s28, v2
	v_subbrev_co_u32_e64 v5, s[0:1], 0, v5, s[0:1]
	v_cmp_le_u32_e64 s[0:1], s29, v5
	v_cndmask_b32_e64 v9, 0, -1, s[0:1]
	v_cmp_le_u32_e64 s[0:1], s28, v8
	v_cndmask_b32_e64 v8, 0, -1, s[0:1]
	v_cmp_eq_u32_e64 s[0:1], s29, v5
	v_cndmask_b32_e64 v5, v9, v8, s[0:1]
	v_add_co_u32_e64 v8, s[0:1], 2, v1
	v_subb_co_u32_e32 v3, vcc, v7, v3, vcc
	v_addc_co_u32_e64 v9, s[0:1], 0, v4, s[0:1]
	v_cmp_le_u32_e32 vcc, s29, v3
	v_add_co_u32_e64 v10, s[0:1], 1, v1
	v_cndmask_b32_e64 v7, 0, -1, vcc
	v_cmp_le_u32_e32 vcc, s28, v2
	v_addc_co_u32_e64 v11, s[0:1], 0, v4, s[0:1]
	v_cndmask_b32_e64 v2, 0, -1, vcc
	v_cmp_eq_u32_e32 vcc, s29, v3
	v_cmp_ne_u32_e64 s[0:1], 0, v5
	v_cndmask_b32_e32 v2, v7, v2, vcc
	v_cmp_ne_u32_e32 vcc, 0, v2
	v_cndmask_b32_e64 v3, v10, v8, s[0:1]
	v_cndmask_b32_e64 v5, v11, v9, s[0:1]
	v_cndmask_b32_e32 v1, v1, v3, vcc
	v_xor_b32_e32 v3, s26, v6
	v_cndmask_b32_e32 v2, v4, v5, vcc
	v_xor_b32_e32 v1, v1, v3
	v_xor_b32_e32 v4, v2, v3
	v_sub_co_u32_e32 v2, vcc, v1, v3
	v_subb_co_u32_e32 v3, vcc, v4, v3, vcc
	s_cbranch_execnz .LBB20_4
.LBB20_3:
	v_cvt_f32_u32_e32 v1, s6
	s_sub_i32 s0, 0, s6
	v_rcp_iflag_f32_e32 v1, v1
	v_mul_f32_e32 v1, 0x4f7ffffe, v1
	v_cvt_u32_f32_e32 v1, v1
	v_mul_lo_u32 v2, s0, v1
	v_mul_hi_u32 v2, v1, v2
	v_add_u32_e32 v1, v1, v2
	v_mul_hi_u32 v1, v0, v1
	v_mul_lo_u32 v2, v1, s6
	v_sub_u32_e32 v2, v0, v2
	v_add_u32_e32 v3, 1, v1
	v_subrev_u32_e32 v4, s6, v2
	v_cmp_le_u32_e32 vcc, s6, v2
	v_cndmask_b32_e32 v2, v2, v4, vcc
	v_cndmask_b32_e32 v1, v1, v3, vcc
	v_add_u32_e32 v3, 1, v1
	v_cmp_le_u32_e32 vcc, s6, v2
	v_cndmask_b32_e32 v2, v1, v3, vcc
	v_mov_b32_e32 v3, 0
.LBB20_4:
	s_sub_u32 s0, 0, s24
	s_subb_u32 s1, 0, s25
	s_sub_u32 s4, 0, s10
	s_subb_u32 s5, 0, s11
	s_waitcnt lgkmcnt(0)
	s_add_i32 s2, s7, s20
	s_add_i32 s7, s8, s21
	s_mul_i32 s7, s7, s22
	s_add_i32 s2, s2, s7
	s_mul_i32 s7, s2, s19
	s_mul_hi_u32 s8, s2, s18
	s_add_i32 s8, s8, s7
	s_mul_i32 s7, s2, s18
	v_mul_lo_u32 v1, v3, s6
	v_mul_lo_u32 v6, v2, s3
	v_mad_u64_u32 v[4:5], s[18:19], v2, s6, 0
	v_add3_u32 v1, v5, v6, v1
	v_sub_co_u32_e32 v0, vcc, v0, v4
	v_subb_co_u32_e32 v1, vcc, 0, v1, vcc
	v_mov_b32_e32 v5, s11
	v_subrev_co_u32_e32 v4, vcc, s10, v0
	v_subb_co_u32_e32 v5, vcc, v1, v5, vcc
	v_ashrrev_i32_e32 v6, 31, v5
	v_xor_b32_e32 v4, v4, v6
	v_xor_b32_e32 v5, v5, v6
	v_sub_co_u32_e32 v4, vcc, v4, v6
	v_subb_co_u32_e32 v5, vcc, v5, v6, vcc
	v_mov_b32_e32 v6, s33
	v_subrev_co_u32_e32 v7, vcc, s31, v0
	v_subb_co_u32_e32 v6, vcc, v1, v6, vcc
	v_add_co_u32_e32 v7, vcc, 1, v7
	v_addc_co_u32_e32 v6, vcc, 0, v6, vcc
	v_ashrrev_i32_e32 v8, 31, v6
	v_xor_b32_e32 v7, v7, v8
	v_xor_b32_e32 v6, v6, v8
	v_sub_co_u32_e32 v9, vcc, v7, v8
	v_cmp_gt_i64_e64 s[18:19], s[4:5], 0
	v_subb_co_u32_e32 v8, vcc, v6, v8, vcc
	s_and_b64 s[18:19], s[18:19], exec
	v_mov_b32_e32 v6, s25
	v_subrev_co_u32_e32 v7, vcc, s24, v2
	s_cselect_b32 s18, s5, 0
	s_cselect_b32 s19, s4, 0
	v_cmp_gt_i64_e64 s[4:5], s[0:1], 0
	v_subb_co_u32_e32 v6, vcc, v3, v6, vcc
	s_and_b64 s[4:5], s[4:5], exec
	v_ashrrev_i32_e32 v10, 31, v6
	s_cselect_b32 s20, s1, 0
	s_cselect_b32 s21, s0, 0
	v_cmp_gt_i64_e64 s[0:1], s[10:11], 0
	v_xor_b32_e32 v7, v7, v10
	s_and_b64 s[0:1], s[0:1], exec
	v_cmp_gt_i64_e64 s[4:5], s[24:25], 0
	v_xor_b32_e32 v6, v6, v10
	v_sub_co_u32_e32 v7, vcc, v7, v10
	s_cselect_b32 s1, s11, 0
	s_cselect_b32 s0, s10, 0
	s_and_b64 s[4:5], s[4:5], exec
	v_subb_co_u32_e32 v6, vcc, v6, v10, vcc
	s_cselect_b32 s5, s25, 0
	s_cselect_b32 s4, s24, 0
	v_mov_b32_e32 v10, s35
	v_subrev_co_u32_e32 v11, vcc, s34, v2
	s_not_b64 s[0:1], s[0:1]
	v_subb_co_u32_e32 v10, vcc, v3, v10, vcc
	s_not_b64 s[4:5], s[4:5]
	v_add_co_u32_e32 v11, vcc, 1, v11
	s_add_u32 s22, s34, s24
	v_addc_co_u32_e32 v10, vcc, 0, v10, vcc
	s_addc_u32 s23, s35, s25
	v_ashrrev_i32_e32 v12, 31, v10
	s_add_u32 s4, s22, s4
	v_xor_b32_e32 v11, v11, v12
	s_addc_u32 s5, s23, s5
	v_xor_b32_e32 v10, v10, v12
	v_sub_co_u32_e32 v11, vcc, v11, v12
	s_add_u32 s4, s4, s21
	v_subb_co_u32_e32 v10, vcc, v10, v12, vcc
	s_addc_u32 s5, s5, s20
	s_add_u32 s4, s4, s7
	v_add_co_u32_e32 v11, vcc, v2, v11
	s_addc_u32 s5, s5, s8
	v_addc_co_u32_e32 v10, vcc, v3, v10, vcc
	v_mov_b32_e32 v12, s5
	v_sub_co_u32_e32 v11, vcc, s4, v11
	v_subb_co_u32_e32 v10, vcc, v12, v10, vcc
	v_add_co_u32_e32 v7, vcc, v11, v7
	v_addc_co_u32_e32 v6, vcc, v10, v6, vcc
	v_mul_lo_u32 v10, v6, s16
	v_mul_lo_u32 v11, v7, s17
	v_mad_u64_u32 v[6:7], s[4:5], v7, s16, 0
	s_add_u32 s4, s31, s10
	s_addc_u32 s5, s33, s11
	s_add_u32 s0, s4, s0
	s_addc_u32 s1, s5, s1
	s_add_u32 s0, s0, s19
	v_add_co_u32_e32 v9, vcc, v0, v9
	v_add3_u32 v7, v7, v11, v10
	s_addc_u32 s1, s1, s18
	v_addc_co_u32_e32 v10, vcc, v1, v8, vcc
	v_mov_b32_e32 v11, s1
	v_sub_co_u32_e32 v8, vcc, s0, v9
	v_subb_co_u32_e32 v9, vcc, v11, v10, vcc
	v_mov_b32_e32 v10, s2
	s_mul_i32 s30, s30, s2
	v_mad_u64_u32 v[2:3], s[0:1], s9, v10, v[2:3]
	v_add_u32_e32 v3, s30, v3
	v_mul_lo_u32 v3, v3, s6
	v_mul_lo_u32 v12, v2, s3
	v_mad_u64_u32 v[10:11], s[0:1], v2, s6, 0
	v_add3_u32 v11, v11, v12, v3
	v_lshlrev_b64 v[2:3], 1, v[8:9]
	v_mov_b32_e32 v8, s13
	v_add_co_u32_e32 v9, vcc, s12, v2
	v_addc_co_u32_e32 v8, vcc, v8, v3, vcc
	v_lshlrev_b64 v[2:3], 1, v[4:5]
	v_add_co_u32_e32 v4, vcc, v9, v2
	v_addc_co_u32_e32 v5, vcc, v8, v3, vcc
	v_lshlrev_b64 v[2:3], 1, v[6:7]
	;; [unrolled: 3-line block ×3, first 2 shown]
	v_mov_b32_e32 v2, s15
	v_add_co_u32_e32 v4, vcc, s14, v4
	v_addc_co_u32_e32 v2, vcc, v2, v5, vcc
	v_lshlrev_b64 v[0:1], 1, v[0:1]
	v_add_co_u32_e32 v0, vcc, v4, v0
	v_addc_co_u32_e32 v1, vcc, v2, v1, vcc
	v_and_b32_e32 v2, -3, v6
	global_load_ushort v4, v[0:1], off
	v_and_b32_e32 v6, 2, v6
	global_load_dword v1, v[2:3], off
	v_mov_b32_e32 v7, 0
	s_mov_b64 s[4:5], 0
	v_cmp_eq_u64_e32 vcc, 0, v[6:7]
	v_cmp_ne_u32_e64 s[0:1], 0, v6
	s_mov_b32 s6, 0xffff0000
	s_branch .LBB20_6
.LBB20_5:                               ;   in Loop: Header=BB20_6 Depth=1
	s_or_b64 exec, exec, s[2:3]
	global_atomic_cmpswap v0, v[2:3], v[0:1], off glc
	s_waitcnt vmcnt(0)
	v_cmp_eq_u32_e64 s[2:3], v1, v0
	s_or_b64 s[4:5], s[2:3], s[4:5]
	v_mov_b32_e32 v1, v0
	s_andn2_b64 exec, exec, s[4:5]
	s_cbranch_execz .LBB20_10
.LBB20_6:                               ; =>This Inner Loop Header: Depth=1
	s_waitcnt vmcnt(0)
	v_lshrrev_b32_e32 v0, 16, v1
	v_cndmask_b32_e32 v0, v0, v1, vcc
	v_add_f16_e32 v5, v4, v0
	s_and_saveexec_b64 s[2:3], s[0:1]
	s_xor_b64 s[2:3], exec, s[2:3]
; %bb.7:                                ;   in Loop: Header=BB20_6 Depth=1
	v_and_b32_e32 v0, 0xffff, v1
	v_lshl_or_b32 v0, v5, 16, v0
                                        ; implicit-def: $vgpr5
; %bb.8:                                ;   in Loop: Header=BB20_6 Depth=1
	s_andn2_saveexec_b64 s[2:3], s[2:3]
	s_cbranch_execz .LBB20_5
; %bb.9:                                ;   in Loop: Header=BB20_6 Depth=1
	v_and_or_b32 v0, v1, s6, v5
	s_branch .LBB20_5
.LBB20_10:
	s_endpgm
.LBB20_11:
                                        ; implicit-def: $vgpr2_vgpr3
	s_branch .LBB20_3
	.section	.rodata,"a",@progbits
	.p2align	6, 0x0
	.amdhsa_kernel _ZN2at6native12_GLOBAL__N_136reflection_pad2d_backward_out_kernelIN3c104HalfEEEvPT_PKS5_lliiiiiii
		.amdhsa_group_segment_fixed_size 0
		.amdhsa_private_segment_fixed_size 0
		.amdhsa_kernarg_size 320
		.amdhsa_user_sgpr_count 6
		.amdhsa_user_sgpr_private_segment_buffer 1
		.amdhsa_user_sgpr_dispatch_ptr 0
		.amdhsa_user_sgpr_queue_ptr 0
		.amdhsa_user_sgpr_kernarg_segment_ptr 1
		.amdhsa_user_sgpr_dispatch_id 0
		.amdhsa_user_sgpr_flat_scratch_init 0
		.amdhsa_user_sgpr_kernarg_preload_length 0
		.amdhsa_user_sgpr_kernarg_preload_offset 0
		.amdhsa_user_sgpr_private_segment_size 0
		.amdhsa_uses_dynamic_stack 0
		.amdhsa_system_sgpr_private_segment_wavefront_offset 0
		.amdhsa_system_sgpr_workgroup_id_x 1
		.amdhsa_system_sgpr_workgroup_id_y 1
		.amdhsa_system_sgpr_workgroup_id_z 1
		.amdhsa_system_sgpr_workgroup_info 0
		.amdhsa_system_vgpr_workitem_id 0
		.amdhsa_next_free_vgpr 13
		.amdhsa_next_free_sgpr 36
		.amdhsa_accum_offset 16
		.amdhsa_reserve_vcc 1
		.amdhsa_reserve_flat_scratch 0
		.amdhsa_float_round_mode_32 0
		.amdhsa_float_round_mode_16_64 0
		.amdhsa_float_denorm_mode_32 3
		.amdhsa_float_denorm_mode_16_64 3
		.amdhsa_dx10_clamp 1
		.amdhsa_ieee_mode 1
		.amdhsa_fp16_overflow 0
		.amdhsa_tg_split 0
		.amdhsa_exception_fp_ieee_invalid_op 0
		.amdhsa_exception_fp_denorm_src 0
		.amdhsa_exception_fp_ieee_div_zero 0
		.amdhsa_exception_fp_ieee_overflow 0
		.amdhsa_exception_fp_ieee_underflow 0
		.amdhsa_exception_fp_ieee_inexact 0
		.amdhsa_exception_int_div_zero 0
	.end_amdhsa_kernel
	.section	.text._ZN2at6native12_GLOBAL__N_136reflection_pad2d_backward_out_kernelIN3c104HalfEEEvPT_PKS5_lliiiiiii,"axG",@progbits,_ZN2at6native12_GLOBAL__N_136reflection_pad2d_backward_out_kernelIN3c104HalfEEEvPT_PKS5_lliiiiiii,comdat
.Lfunc_end20:
	.size	_ZN2at6native12_GLOBAL__N_136reflection_pad2d_backward_out_kernelIN3c104HalfEEEvPT_PKS5_lliiiiiii, .Lfunc_end20-_ZN2at6native12_GLOBAL__N_136reflection_pad2d_backward_out_kernelIN3c104HalfEEEvPT_PKS5_lliiiiiii
                                        ; -- End function
	.section	.AMDGPU.csdata,"",@progbits
; Kernel info:
; codeLenInByte = 1708
; NumSgprs: 40
; NumVgprs: 13
; NumAgprs: 0
; TotalNumVgprs: 13
; ScratchSize: 0
; MemoryBound: 0
; FloatMode: 240
; IeeeMode: 1
; LDSByteSize: 0 bytes/workgroup (compile time only)
; SGPRBlocks: 4
; VGPRBlocks: 1
; NumSGPRsForWavesPerEU: 40
; NumVGPRsForWavesPerEU: 13
; AccumOffset: 16
; Occupancy: 8
; WaveLimiterHint : 0
; COMPUTE_PGM_RSRC2:SCRATCH_EN: 0
; COMPUTE_PGM_RSRC2:USER_SGPR: 6
; COMPUTE_PGM_RSRC2:TRAP_HANDLER: 0
; COMPUTE_PGM_RSRC2:TGID_X_EN: 1
; COMPUTE_PGM_RSRC2:TGID_Y_EN: 1
; COMPUTE_PGM_RSRC2:TGID_Z_EN: 1
; COMPUTE_PGM_RSRC2:TIDIG_COMP_CNT: 0
; COMPUTE_PGM_RSRC3_GFX90A:ACCUM_OFFSET: 3
; COMPUTE_PGM_RSRC3_GFX90A:TG_SPLIT: 0
	.section	.text._ZN2at6native12_GLOBAL__N_140reflection_pad2d_backward_det_out_kernelIN3c108BFloat16EEEvPT_PKS5_lliiiiiii,"axG",@progbits,_ZN2at6native12_GLOBAL__N_140reflection_pad2d_backward_det_out_kernelIN3c108BFloat16EEEvPT_PKS5_lliiiiiii,comdat
	.globl	_ZN2at6native12_GLOBAL__N_140reflection_pad2d_backward_det_out_kernelIN3c108BFloat16EEEvPT_PKS5_lliiiiiii ; -- Begin function _ZN2at6native12_GLOBAL__N_140reflection_pad2d_backward_det_out_kernelIN3c108BFloat16EEEvPT_PKS5_lliiiiiii
	.p2align	8
	.type	_ZN2at6native12_GLOBAL__N_140reflection_pad2d_backward_det_out_kernelIN3c108BFloat16EEEvPT_PKS5_lliiiiiii,@function
_ZN2at6native12_GLOBAL__N_140reflection_pad2d_backward_det_out_kernelIN3c108BFloat16EEEvPT_PKS5_lliiiiiii: ; @_ZN2at6native12_GLOBAL__N_140reflection_pad2d_backward_det_out_kernelIN3c108BFloat16EEEvPT_PKS5_lliiiiiii
; %bb.0:
	s_load_dword s2, s[4:5], 0x4c
	s_load_dwordx2 s[0:1], s[4:5], 0x30
	s_load_dwordx8 s[8:15], s[4:5], 0x0
	s_add_u32 s18, s4, 64
	s_addc_u32 s19, s5, 0
	s_waitcnt lgkmcnt(0)
	s_and_b32 s22, s2, 0xffff
	s_ashr_i32 s2, s0, 31
	s_mul_i32 s3, s14, s13
	s_mul_hi_u32 s16, s14, s12
	s_add_i32 s33, s16, s3
	s_mul_i32 s3, s15, s12
	s_mul_i32 s50, s14, s12
	s_add_i32 s33, s33, s3
	s_mul_i32 s2, s50, s2
	s_mul_hi_u32 s16, s50, s0
	s_ashr_i32 s7, s1, 31
	s_mul_i32 s3, s33, s0
	s_add_i32 s2, s16, s2
	s_mul_i32 s0, s50, s0
	s_add_i32 s2, s2, s3
	s_mul_i32 s3, s0, s7
	s_mul_hi_u32 s16, s0, s1
	s_mul_i32 s6, s6, s22
	v_mov_b32_e32 v2, 0
	s_mul_i32 s2, s2, s1
	s_add_i32 s3, s16, s3
	v_add_u32_e32 v0, s6, v0
	v_mov_b32_e32 v1, v2
	s_add_i32 s17, s3, s2
	s_mul_i32 s16, s0, s1
	s_mov_b32 s6, s1
	v_cmp_gt_i64_e32 vcc, s[16:17], v[0:1]
	s_and_saveexec_b64 s[0:1], vcc
	s_cbranch_execz .LBB21_53
; %bb.1:
	s_load_dwordx4 s[0:3], s[4:5], 0x20
	s_load_dword s24, s[18:19], 0x0
	v_sub_co_u32_e32 v4, vcc, 0, v0
	s_mul_i32 s54, s50, s6
	s_waitcnt lgkmcnt(0)
	s_ashr_i32 s5, s2, 31
	s_add_u32 s34, s2, s12
	s_addc_u32 s35, s5, s13
	s_ashr_i32 s31, s3, 31
	s_add_u32 s51, s34, s3
	s_addc_u32 s52, s35, s31
	s_ashr_i32 s19, s0, 31
	s_mov_b32 s30, s3
	s_add_u32 s3, s0, s14
	s_addc_u32 s20, s19, s15
	s_ashr_i32 s27, s1, 31
	s_mov_b32 s26, s1
	s_add_u32 s1, s3, s1
	s_addc_u32 s3, s20, s27
	s_mul_i32 s3, s51, s3
	s_mul_hi_u32 s20, s51, s1
	s_add_i32 s3, s20, s3
	s_mul_i32 s20, s52, s1
	s_add_i32 s21, s3, s20
	s_mul_i32 s20, s51, s1
	s_mul_i32 s1, s50, s7
	s_mul_hi_u32 s3, s50, s6
	s_add_i32 s1, s3, s1
	s_mul_i32 s3, s33, s6
	s_add_i32 s53, s1, s3
	s_mul_hi_u32 s23, s22, s24
	s_mul_i32 s22, s22, s24
	s_add_u32 s24, s14, -1
	s_addc_u32 s25, s15, -1
	s_not_b64 s[26:27], s[26:27]
	s_add_u32 s26, s26, s14
	s_addc_u32 s27, s27, s15
	s_add_u32 s28, s12, -1
	s_addc_u32 s29, s13, -1
	s_not_b64 s[30:31], s[30:31]
	s_add_u32 s30, s30, s12
	s_mul_i32 s1, s20, s7
	s_mul_hi_u32 s3, s20, s6
	s_addc_u32 s31, s31, s13
	s_add_i32 s1, s3, s1
	s_mul_i32 s3, s21, s6
	s_add_i32 s55, s1, s3
	s_add_u32 s1, s12, s34
	s_addc_u32 s3, s13, s35
	s_add_u32 s57, s1, -2
	s_addc_u32 s58, s3, -1
	s_lshl_b64 s[34:35], s[24:25], 1
	s_add_u32 s59, s34, s0
	s_mov_b32 s18, s0
	s_addc_u32 s60, s35, s19
	s_lshl_b64 s[0:1], s[28:29], 1
	s_add_u32 s61, s0, s2
	s_addc_u32 s62, s1, s5
	s_mov_b32 s4, s2
	s_sub_u32 s63, 0, s14
	v_subb_co_u32_e64 v5, s[0:1], 0, 0, vcc
	s_subb_u32 s64, 0, s15
	s_lshl_b64 s[36:37], s[6:7], 1
	s_lshl_b64 s[38:39], s[12:13], 1
	;; [unrolled: 1-line block ×3, first 2 shown]
	s_add_u32 s65, s10, s0
	s_addc_u32 s66, s11, s1
	s_lshl_b64 s[40:41], s[22:23], 1
	s_sub_u32 s67, 0, s50
	s_mul_i32 s56, s20, s6
	s_mov_b64 s[34:35], 0
	v_lshlrev_b64 v[6:7], 1, v[0:1]
	s_subb_u32 s68, 0, s33
	s_movk_i32 s69, 0x7fff
	v_mov_b32_e32 v22, 0x7fc0
	v_mov_b32_e32 v23, 0x7fc00000
	s_branch .LBB21_4
.LBB21_2:                               ;   in Loop: Header=BB21_4 Depth=1
	s_or_b64 exec, exec, s[0:1]
.LBB21_3:                               ;   in Loop: Header=BB21_4 Depth=1
	s_or_b64 exec, exec, s[42:43]
	v_lshlrev_b64 v[10:11], 1, v[12:13]
	v_mul_lo_u32 v12, s36, v9
	v_mul_lo_u32 v13, s37, v8
	v_mad_u64_u32 v[8:9], s[0:1], s36, v8, v[10:11]
	v_add3_u32 v9, v13, v9, v12
	v_mul_lo_u32 v12, s39, v3
	v_mul_lo_u32 v13, s38, v24
	v_mad_u64_u32 v[10:11], s[0:1], s38, v3, 0
	v_add3_u32 v11, v11, v13, v12
	v_mul_lo_u32 v3, s20, v9
	v_mad_u64_u32 v[10:11], s[0:1], s20, v8, v[10:11]
	v_mul_lo_u32 v8, s21, v8
	v_add3_u32 v3, v8, v11, v3
	v_lshlrev_b64 v[8:9], 1, v[18:19]
	v_add_co_u32_e32 v8, vcc, v10, v8
	v_addc_co_u32_e32 v3, vcc, v3, v9, vcc
	v_add_co_u32_e32 v8, vcc, v6, v8
	v_addc_co_u32_e32 v3, vcc, v7, v3, vcc
	v_mov_b32_e32 v9, s66
	v_add_co_u32_e32 v8, vcc, s65, v8
	v_addc_co_u32_e32 v9, vcc, v9, v3, vcc
	v_mov_b32_e32 v3, s9
	v_add_co_u32_e32 v10, vcc, s8, v6
	v_addc_co_u32_e32 v11, vcc, v3, v7, vcc
	global_load_ushort v3, v[10:11], off
	s_nop 0
	global_load_ushort v8, v[8:9], off
	v_mov_b32_e32 v12, s23
	v_add_co_u32_e32 v0, vcc, s22, v0
	v_lshlrev_b32_e32 v9, 16, v25
	v_addc_co_u32_e32 v1, vcc, v1, v12, vcc
	v_subrev_co_u32_e32 v4, vcc, s22, v4
	v_subb_co_u32_e32 v5, vcc, v5, v12, vcc
	v_cmp_le_i64_e32 vcc, s[16:17], v[0:1]
	s_or_b64 s[34:35], vcc, s[34:35]
	v_mov_b32_e32 v13, s41
	s_waitcnt vmcnt(1)
	v_lshlrev_b32_e32 v3, 16, v3
	s_waitcnt vmcnt(0)
	v_lshlrev_b32_e32 v8, 16, v8
	v_add_f32_e32 v8, v8, v9
	v_bfe_u32 v9, v8, 16, 1
	v_add3_u32 v9, v8, v9, s69
	v_and_b32_e32 v9, 0xffff0000, v9
	v_cmp_o_f32_e32 vcc, v8, v8
	v_cndmask_b32_e32 v8, v23, v9, vcc
	v_add_f32_e32 v3, v8, v3
	v_bfe_u32 v8, v3, 16, 1
	v_add3_u32 v8, v3, v8, s69
	v_lshrrev_b32_e32 v8, 16, v8
	v_cmp_o_f32_e32 vcc, v3, v3
	v_cndmask_b32_e32 v3, v22, v8, vcc
	v_add_co_u32_e32 v6, vcc, s40, v6
	v_addc_co_u32_e32 v7, vcc, v7, v13, vcc
	global_store_short v[10:11], v3, off
	s_andn2_b64 exec, exec, s[34:35]
	s_cbranch_execz .LBB21_53
.LBB21_4:                               ; =>This Inner Loop Header: Depth=1
	v_or_b32_e32 v3, s53, v1
	v_cmp_ne_u64_e32 vcc, 0, v[2:3]
	v_ashrrev_i32_e32 v12, 31, v1
                                        ; implicit-def: $vgpr8_vgpr9
	s_and_saveexec_b64 s[0:1], vcc
	s_xor_b64 s[2:3], exec, s[0:1]
	s_cbranch_execz .LBB21_6
; %bb.5:                                ;   in Loop: Header=BB21_4 Depth=1
	s_ashr_i32 s42, s53, 31
	s_add_u32 s0, s54, s42
	s_mov_b32 s43, s42
	s_addc_u32 s1, s53, s42
	s_xor_b64 s[44:45], s[0:1], s[42:43]
	v_cvt_f32_u32_e32 v3, s44
	v_cvt_f32_u32_e32 v8, s45
	s_sub_u32 s0, 0, s44
	s_subb_u32 s1, 0, s45
	v_mac_f32_e32 v3, 0x4f800000, v8
	v_rcp_f32_e32 v3, v3
	v_mul_f32_e32 v3, 0x5f7ffffc, v3
	v_mul_f32_e32 v8, 0x2f800000, v3
	v_trunc_f32_e32 v8, v8
	v_mac_f32_e32 v3, 0xcf800000, v8
	v_cvt_u32_f32_e32 v8, v8
	v_cvt_u32_f32_e32 v3, v3
	v_mul_lo_u32 v9, s0, v8
	v_mul_hi_u32 v11, s0, v3
	v_mul_lo_u32 v10, s1, v3
	v_add_u32_e32 v9, v11, v9
	v_mul_lo_u32 v13, s0, v3
	v_add_u32_e32 v9, v9, v10
	v_mul_lo_u32 v11, v3, v9
	v_mul_hi_u32 v14, v3, v13
	v_mul_hi_u32 v10, v3, v9
	v_add_co_u32_e32 v11, vcc, v14, v11
	v_addc_co_u32_e32 v10, vcc, 0, v10, vcc
	v_mul_hi_u32 v15, v8, v13
	v_mul_lo_u32 v13, v8, v13
	v_add_co_u32_e32 v11, vcc, v11, v13
	v_mul_hi_u32 v14, v8, v9
	v_addc_co_u32_e32 v10, vcc, v10, v15, vcc
	v_addc_co_u32_e32 v11, vcc, 0, v14, vcc
	v_mul_lo_u32 v9, v8, v9
	v_add_co_u32_e32 v9, vcc, v10, v9
	v_addc_co_u32_e32 v10, vcc, 0, v11, vcc
	v_add_co_u32_e32 v3, vcc, v3, v9
	v_addc_co_u32_e32 v8, vcc, v8, v10, vcc
	v_mul_lo_u32 v9, s0, v8
	v_mul_hi_u32 v10, s0, v3
	v_add_u32_e32 v9, v10, v9
	v_mul_lo_u32 v10, s1, v3
	v_add_u32_e32 v9, v9, v10
	v_mul_lo_u32 v11, s0, v3
	v_mul_hi_u32 v13, v8, v11
	v_mul_lo_u32 v14, v8, v11
	v_mul_lo_u32 v16, v3, v9
	v_mul_hi_u32 v11, v3, v11
	v_mul_hi_u32 v15, v3, v9
	v_add_co_u32_e32 v11, vcc, v11, v16
	v_addc_co_u32_e32 v15, vcc, 0, v15, vcc
	v_add_co_u32_e32 v11, vcc, v11, v14
	v_mul_hi_u32 v10, v8, v9
	v_addc_co_u32_e32 v11, vcc, v15, v13, vcc
	v_addc_co_u32_e32 v10, vcc, 0, v10, vcc
	v_mul_lo_u32 v9, v8, v9
	v_add_co_u32_e32 v9, vcc, v11, v9
	v_addc_co_u32_e32 v10, vcc, 0, v10, vcc
	v_add_co_u32_e32 v3, vcc, v3, v9
	v_addc_co_u32_e32 v10, vcc, v8, v10, vcc
	;; [unrolled: 2-line block ×3, first 2 shown]
	v_xor_b32_e32 v14, v8, v12
	v_xor_b32_e32 v13, v9, v12
	v_mad_u64_u32 v[8:9], s[0:1], v14, v10, 0
	v_mul_hi_u32 v11, v14, v3
	v_add_co_u32_e32 v15, vcc, v11, v8
	v_addc_co_u32_e32 v16, vcc, 0, v9, vcc
	v_mad_u64_u32 v[8:9], s[0:1], v13, v10, 0
	v_mad_u64_u32 v[10:11], s[0:1], v13, v3, 0
	v_add_co_u32_e32 v3, vcc, v15, v10
	v_addc_co_u32_e32 v3, vcc, v16, v11, vcc
	v_addc_co_u32_e32 v9, vcc, 0, v9, vcc
	v_add_co_u32_e32 v3, vcc, v3, v8
	v_addc_co_u32_e32 v10, vcc, 0, v9, vcc
	v_mul_lo_u32 v11, s45, v3
	v_mul_lo_u32 v15, s44, v10
	v_mad_u64_u32 v[8:9], s[0:1], s44, v3, 0
	v_add3_u32 v9, v9, v15, v11
	v_sub_u32_e32 v11, v13, v9
	v_mov_b32_e32 v15, s45
	v_sub_co_u32_e32 v8, vcc, v14, v8
	v_subb_co_u32_e64 v11, s[0:1], v11, v15, vcc
	v_subrev_co_u32_e64 v14, s[0:1], s44, v8
	v_subbrev_co_u32_e64 v11, s[0:1], 0, v11, s[0:1]
	v_cmp_le_u32_e64 s[0:1], s45, v11
	v_cndmask_b32_e64 v15, 0, -1, s[0:1]
	v_cmp_le_u32_e64 s[0:1], s44, v14
	v_cndmask_b32_e64 v14, 0, -1, s[0:1]
	v_cmp_eq_u32_e64 s[0:1], s45, v11
	v_cndmask_b32_e64 v11, v15, v14, s[0:1]
	v_add_co_u32_e64 v14, s[0:1], 2, v3
	v_subb_co_u32_e32 v9, vcc, v13, v9, vcc
	v_addc_co_u32_e64 v15, s[0:1], 0, v10, s[0:1]
	v_cmp_le_u32_e32 vcc, s45, v9
	v_add_co_u32_e64 v16, s[0:1], 1, v3
	v_cndmask_b32_e64 v13, 0, -1, vcc
	v_cmp_le_u32_e32 vcc, s44, v8
	v_addc_co_u32_e64 v17, s[0:1], 0, v10, s[0:1]
	v_cndmask_b32_e64 v8, 0, -1, vcc
	v_cmp_eq_u32_e32 vcc, s45, v9
	v_cmp_ne_u32_e64 s[0:1], 0, v11
	v_cndmask_b32_e32 v8, v13, v8, vcc
	v_cmp_ne_u32_e32 vcc, 0, v8
	v_cndmask_b32_e64 v9, v16, v14, s[0:1]
	v_cndmask_b32_e64 v11, v17, v15, s[0:1]
	v_cndmask_b32_e32 v3, v3, v9, vcc
	v_xor_b32_e32 v9, s42, v12
	v_cndmask_b32_e32 v8, v10, v11, vcc
	v_xor_b32_e32 v3, v3, v9
	v_xor_b32_e32 v10, v8, v9
	v_sub_co_u32_e32 v8, vcc, v3, v9
	v_subb_co_u32_e32 v9, vcc, v10, v9, vcc
.LBB21_6:                               ;   in Loop: Header=BB21_4 Depth=1
	s_andn2_saveexec_b64 s[0:1], s[2:3]
	s_cbranch_execz .LBB21_8
; %bb.7:                                ;   in Loop: Header=BB21_4 Depth=1
	v_cvt_f32_u32_e32 v3, s54
	s_sub_i32 s2, 0, s54
	v_rcp_iflag_f32_e32 v3, v3
	v_mul_f32_e32 v3, 0x4f7ffffe, v3
	v_cvt_u32_f32_e32 v3, v3
	v_mul_lo_u32 v8, s2, v3
	v_mul_hi_u32 v8, v3, v8
	v_add_u32_e32 v3, v3, v8
	v_mul_hi_u32 v3, v0, v3
	v_mul_lo_u32 v8, v3, s54
	v_sub_u32_e32 v8, v0, v8
	v_add_u32_e32 v9, 1, v3
	v_subrev_u32_e32 v10, s54, v8
	v_cmp_le_u32_e32 vcc, s54, v8
	v_cndmask_b32_e32 v8, v8, v10, vcc
	v_cndmask_b32_e32 v3, v3, v9, vcc
	v_add_u32_e32 v9, 1, v3
	v_cmp_le_u32_e32 vcc, s54, v8
	v_cndmask_b32_e32 v8, v3, v9, vcc
	v_mov_b32_e32 v9, v2
.LBB21_8:                               ;   in Loop: Header=BB21_4 Depth=1
	s_or_b64 exec, exec, s[0:1]
	v_or_b32_e32 v3, s33, v1
	v_cmp_ne_u64_e32 vcc, 0, v[2:3]
                                        ; implicit-def: $vgpr10_vgpr11
	s_and_saveexec_b64 s[0:1], vcc
	s_xor_b64 s[2:3], exec, s[0:1]
	s_cbranch_execz .LBB21_10
; %bb.9:                                ;   in Loop: Header=BB21_4 Depth=1
	s_ashr_i32 s42, s33, 31
	s_add_u32 s0, s50, s42
	s_mov_b32 s43, s42
	s_addc_u32 s1, s33, s42
	s_xor_b64 s[44:45], s[0:1], s[42:43]
	v_cvt_f32_u32_e32 v3, s44
	v_cvt_f32_u32_e32 v10, s45
	s_sub_u32 s0, 0, s44
	s_subb_u32 s1, 0, s45
	v_mac_f32_e32 v3, 0x4f800000, v10
	v_rcp_f32_e32 v3, v3
	v_mul_f32_e32 v3, 0x5f7ffffc, v3
	v_mul_f32_e32 v10, 0x2f800000, v3
	v_trunc_f32_e32 v10, v10
	v_mac_f32_e32 v3, 0xcf800000, v10
	v_cvt_u32_f32_e32 v10, v10
	v_cvt_u32_f32_e32 v3, v3
	v_mul_lo_u32 v11, s0, v10
	v_mul_hi_u32 v14, s0, v3
	v_mul_lo_u32 v13, s1, v3
	v_add_u32_e32 v11, v14, v11
	v_mul_lo_u32 v15, s0, v3
	v_add_u32_e32 v11, v11, v13
	v_mul_lo_u32 v14, v3, v11
	v_mul_hi_u32 v16, v3, v15
	v_mul_hi_u32 v13, v3, v11
	v_add_co_u32_e32 v14, vcc, v16, v14
	v_addc_co_u32_e32 v13, vcc, 0, v13, vcc
	v_mul_hi_u32 v17, v10, v15
	v_mul_lo_u32 v15, v10, v15
	v_add_co_u32_e32 v14, vcc, v14, v15
	v_mul_hi_u32 v16, v10, v11
	v_addc_co_u32_e32 v13, vcc, v13, v17, vcc
	v_addc_co_u32_e32 v14, vcc, 0, v16, vcc
	v_mul_lo_u32 v11, v10, v11
	v_add_co_u32_e32 v11, vcc, v13, v11
	v_addc_co_u32_e32 v13, vcc, 0, v14, vcc
	v_add_co_u32_e32 v3, vcc, v3, v11
	v_addc_co_u32_e32 v10, vcc, v10, v13, vcc
	v_mul_lo_u32 v11, s0, v10
	v_mul_hi_u32 v13, s0, v3
	v_add_u32_e32 v11, v13, v11
	v_mul_lo_u32 v13, s1, v3
	v_add_u32_e32 v11, v11, v13
	v_mul_lo_u32 v14, s0, v3
	v_mul_hi_u32 v15, v10, v14
	v_mul_lo_u32 v16, v10, v14
	v_mul_lo_u32 v18, v3, v11
	v_mul_hi_u32 v14, v3, v14
	v_mul_hi_u32 v17, v3, v11
	v_add_co_u32_e32 v14, vcc, v14, v18
	v_addc_co_u32_e32 v17, vcc, 0, v17, vcc
	v_add_co_u32_e32 v14, vcc, v14, v16
	v_mul_hi_u32 v13, v10, v11
	v_addc_co_u32_e32 v14, vcc, v17, v15, vcc
	v_addc_co_u32_e32 v13, vcc, 0, v13, vcc
	v_mul_lo_u32 v11, v10, v11
	v_add_co_u32_e32 v11, vcc, v14, v11
	v_addc_co_u32_e32 v13, vcc, 0, v13, vcc
	v_add_co_u32_e32 v3, vcc, v3, v11
	v_addc_co_u32_e32 v13, vcc, v10, v13, vcc
	;; [unrolled: 2-line block ×3, first 2 shown]
	v_xor_b32_e32 v17, v10, v12
	v_xor_b32_e32 v16, v11, v12
	v_mad_u64_u32 v[10:11], s[0:1], v17, v13, 0
	v_mul_hi_u32 v14, v17, v3
	v_add_co_u32_e32 v18, vcc, v14, v10
	v_addc_co_u32_e32 v19, vcc, 0, v11, vcc
	v_mad_u64_u32 v[14:15], s[0:1], v16, v3, 0
	v_add_co_u32_e32 v3, vcc, v18, v14
	v_mad_u64_u32 v[10:11], s[0:1], v16, v13, 0
	v_addc_co_u32_e32 v3, vcc, v19, v15, vcc
	v_addc_co_u32_e32 v11, vcc, 0, v11, vcc
	v_add_co_u32_e32 v3, vcc, v3, v10
	v_addc_co_u32_e32 v13, vcc, 0, v11, vcc
	v_mul_lo_u32 v14, s45, v3
	v_mul_lo_u32 v15, s44, v13
	v_mad_u64_u32 v[10:11], s[0:1], s44, v3, 0
	v_add3_u32 v11, v11, v15, v14
	v_sub_u32_e32 v14, v16, v11
	v_mov_b32_e32 v15, s45
	v_sub_co_u32_e32 v10, vcc, v17, v10
	v_subb_co_u32_e64 v14, s[0:1], v14, v15, vcc
	v_subrev_co_u32_e64 v15, s[0:1], s44, v10
	v_subbrev_co_u32_e64 v14, s[0:1], 0, v14, s[0:1]
	v_cmp_le_u32_e64 s[0:1], s45, v14
	v_cndmask_b32_e64 v17, 0, -1, s[0:1]
	v_cmp_le_u32_e64 s[0:1], s44, v15
	v_cndmask_b32_e64 v15, 0, -1, s[0:1]
	v_cmp_eq_u32_e64 s[0:1], s45, v14
	v_cndmask_b32_e64 v14, v17, v15, s[0:1]
	v_add_co_u32_e64 v15, s[0:1], 2, v3
	v_subb_co_u32_e32 v11, vcc, v16, v11, vcc
	v_addc_co_u32_e64 v17, s[0:1], 0, v13, s[0:1]
	v_cmp_le_u32_e32 vcc, s45, v11
	v_add_co_u32_e64 v18, s[0:1], 1, v3
	v_cndmask_b32_e64 v16, 0, -1, vcc
	v_cmp_le_u32_e32 vcc, s44, v10
	v_addc_co_u32_e64 v19, s[0:1], 0, v13, s[0:1]
	v_cndmask_b32_e64 v10, 0, -1, vcc
	v_cmp_eq_u32_e32 vcc, s45, v11
	v_cmp_ne_u32_e64 s[0:1], 0, v14
	v_cndmask_b32_e32 v10, v16, v10, vcc
	v_cmp_ne_u32_e32 vcc, 0, v10
	v_cndmask_b32_e64 v11, v18, v15, s[0:1]
	v_cndmask_b32_e64 v14, v19, v17, s[0:1]
	v_cndmask_b32_e32 v3, v3, v11, vcc
	v_xor_b32_e32 v11, s42, v12
	v_cndmask_b32_e32 v10, v13, v14, vcc
	v_xor_b32_e32 v3, v3, v11
	v_xor_b32_e32 v12, v10, v11
	v_sub_co_u32_e32 v10, vcc, v3, v11
	v_subb_co_u32_e32 v11, vcc, v12, v11, vcc
.LBB21_10:                              ;   in Loop: Header=BB21_4 Depth=1
	s_andn2_saveexec_b64 s[0:1], s[2:3]
	s_cbranch_execz .LBB21_12
; %bb.11:                               ;   in Loop: Header=BB21_4 Depth=1
	v_cvt_f32_u32_e32 v3, s50
	s_sub_i32 s2, 0, s50
	v_rcp_iflag_f32_e32 v3, v3
	v_mul_f32_e32 v3, 0x4f7ffffe, v3
	v_cvt_u32_f32_e32 v3, v3
	v_mul_lo_u32 v10, s2, v3
	v_mul_hi_u32 v10, v3, v10
	v_add_u32_e32 v3, v3, v10
	v_mul_hi_u32 v3, v0, v3
	v_mul_lo_u32 v10, v3, s50
	v_sub_u32_e32 v10, v0, v10
	v_add_u32_e32 v11, 1, v3
	v_subrev_u32_e32 v12, s50, v10
	v_cmp_le_u32_e32 vcc, s50, v10
	v_cndmask_b32_e32 v10, v10, v12, vcc
	v_cndmask_b32_e32 v3, v3, v11, vcc
	v_add_u32_e32 v11, 1, v3
	v_cmp_le_u32_e32 vcc, s50, v10
	v_cndmask_b32_e32 v10, v3, v11, vcc
	v_mov_b32_e32 v11, v2
.LBB21_12:                              ;   in Loop: Header=BB21_4 Depth=1
	s_or_b64 exec, exec, s[0:1]
	v_or_b32_e32 v3, s7, v11
	v_cmp_ne_u64_e32 vcc, 0, v[2:3]
                                        ; implicit-def: $vgpr12_vgpr13
	s_and_saveexec_b64 s[0:1], vcc
	s_xor_b64 s[42:43], exec, s[0:1]
	s_cbranch_execz .LBB21_14
; %bb.13:                               ;   in Loop: Header=BB21_4 Depth=1
	s_add_u32 s2, s6, s7
	s_mov_b32 s0, s7
	s_mov_b32 s1, s7
	s_addc_u32 s3, s7, s7
	s_xor_b64 s[44:45], s[2:3], s[0:1]
	v_cvt_f32_u32_e32 v3, s44
	v_cvt_f32_u32_e32 v12, s45
	s_sub_u32 s0, 0, s44
	s_subb_u32 s1, 0, s45
	v_mac_f32_e32 v3, 0x4f800000, v12
	v_rcp_f32_e32 v3, v3
	v_mul_f32_e32 v3, 0x5f7ffffc, v3
	v_mul_f32_e32 v12, 0x2f800000, v3
	v_trunc_f32_e32 v12, v12
	v_mac_f32_e32 v3, 0xcf800000, v12
	v_cvt_u32_f32_e32 v12, v12
	v_cvt_u32_f32_e32 v3, v3
	v_mul_lo_u32 v13, s0, v12
	v_mul_hi_u32 v15, s0, v3
	v_mul_lo_u32 v14, s1, v3
	v_add_u32_e32 v13, v15, v13
	v_mul_lo_u32 v16, s0, v3
	v_add_u32_e32 v13, v13, v14
	v_mul_lo_u32 v15, v3, v13
	v_mul_hi_u32 v17, v3, v16
	v_mul_hi_u32 v14, v3, v13
	v_add_co_u32_e32 v15, vcc, v17, v15
	v_addc_co_u32_e32 v14, vcc, 0, v14, vcc
	v_mul_hi_u32 v18, v12, v16
	v_mul_lo_u32 v16, v12, v16
	v_add_co_u32_e32 v15, vcc, v15, v16
	v_mul_hi_u32 v17, v12, v13
	v_addc_co_u32_e32 v14, vcc, v14, v18, vcc
	v_addc_co_u32_e32 v15, vcc, 0, v17, vcc
	v_mul_lo_u32 v13, v12, v13
	v_add_co_u32_e32 v13, vcc, v14, v13
	v_addc_co_u32_e32 v14, vcc, 0, v15, vcc
	v_add_co_u32_e32 v3, vcc, v3, v13
	v_addc_co_u32_e32 v12, vcc, v12, v14, vcc
	v_mul_lo_u32 v13, s0, v12
	v_mul_hi_u32 v14, s0, v3
	v_add_u32_e32 v13, v14, v13
	v_mul_lo_u32 v14, s1, v3
	v_add_u32_e32 v13, v13, v14
	v_mul_lo_u32 v15, s0, v3
	v_mul_hi_u32 v16, v12, v15
	v_mul_lo_u32 v17, v12, v15
	v_mul_lo_u32 v19, v3, v13
	v_mul_hi_u32 v15, v3, v15
	v_mul_hi_u32 v18, v3, v13
	v_add_co_u32_e32 v15, vcc, v15, v19
	v_addc_co_u32_e32 v18, vcc, 0, v18, vcc
	v_add_co_u32_e32 v15, vcc, v15, v17
	v_mul_hi_u32 v14, v12, v13
	v_addc_co_u32_e32 v15, vcc, v18, v16, vcc
	v_addc_co_u32_e32 v14, vcc, 0, v14, vcc
	v_mul_lo_u32 v13, v12, v13
	v_add_co_u32_e32 v13, vcc, v15, v13
	v_addc_co_u32_e32 v14, vcc, 0, v14, vcc
	v_add_co_u32_e32 v3, vcc, v3, v13
	v_addc_co_u32_e32 v14, vcc, v12, v14, vcc
	v_ashrrev_i32_e32 v16, 31, v11
	v_add_co_u32_e32 v12, vcc, v10, v16
	v_addc_co_u32_e32 v13, vcc, v11, v16, vcc
	v_xor_b32_e32 v18, v12, v16
	v_xor_b32_e32 v17, v13, v16
	v_mad_u64_u32 v[12:13], s[0:1], v18, v14, 0
	v_mul_hi_u32 v15, v18, v3
	v_add_co_u32_e32 v19, vcc, v15, v12
	v_addc_co_u32_e32 v20, vcc, 0, v13, vcc
	v_mad_u64_u32 v[12:13], s[0:1], v17, v14, 0
	v_mad_u64_u32 v[14:15], s[0:1], v17, v3, 0
	v_add_co_u32_e32 v3, vcc, v19, v14
	v_addc_co_u32_e32 v3, vcc, v20, v15, vcc
	v_addc_co_u32_e32 v13, vcc, 0, v13, vcc
	v_add_co_u32_e32 v3, vcc, v3, v12
	v_addc_co_u32_e32 v12, vcc, 0, v13, vcc
	v_mul_lo_u32 v14, s45, v3
	v_mul_lo_u32 v15, s44, v12
	v_mad_u64_u32 v[12:13], s[0:1], s44, v3, 0
	v_add3_u32 v3, v13, v15, v14
	v_sub_u32_e32 v13, v17, v3
	v_mov_b32_e32 v14, s45
	v_sub_co_u32_e32 v12, vcc, v18, v12
	v_subb_co_u32_e64 v13, s[0:1], v13, v14, vcc
	v_subrev_co_u32_e64 v15, s[0:1], s44, v12
	v_subbrev_co_u32_e64 v18, s[2:3], 0, v13, s[0:1]
	v_cmp_le_u32_e64 s[2:3], s45, v18
	v_cndmask_b32_e64 v19, 0, -1, s[2:3]
	v_cmp_le_u32_e64 s[2:3], s44, v15
	v_subb_co_u32_e64 v13, s[0:1], v13, v14, s[0:1]
	v_cndmask_b32_e64 v20, 0, -1, s[2:3]
	v_cmp_eq_u32_e64 s[2:3], s45, v18
	v_subrev_co_u32_e64 v14, s[0:1], s44, v15
	v_subb_co_u32_e32 v3, vcc, v17, v3, vcc
	v_cndmask_b32_e64 v19, v19, v20, s[2:3]
	v_subbrev_co_u32_e64 v13, s[0:1], 0, v13, s[0:1]
	v_cmp_le_u32_e32 vcc, s45, v3
	v_cmp_ne_u32_e64 s[0:1], 0, v19
	v_cndmask_b32_e64 v17, 0, -1, vcc
	v_cmp_le_u32_e32 vcc, s44, v12
	v_cndmask_b32_e64 v13, v18, v13, s[0:1]
	v_cndmask_b32_e64 v18, 0, -1, vcc
	v_cmp_eq_u32_e32 vcc, s45, v3
	v_cndmask_b32_e32 v17, v17, v18, vcc
	v_cmp_ne_u32_e32 vcc, 0, v17
	v_cndmask_b32_e32 v3, v3, v13, vcc
	v_cndmask_b32_e64 v13, v15, v14, s[0:1]
	v_cndmask_b32_e32 v12, v12, v13, vcc
	v_xor_b32_e32 v12, v12, v16
	v_xor_b32_e32 v3, v3, v16
	v_sub_co_u32_e32 v12, vcc, v12, v16
	v_subb_co_u32_e32 v13, vcc, v3, v16, vcc
.LBB21_14:                              ;   in Loop: Header=BB21_4 Depth=1
	s_andn2_saveexec_b64 s[0:1], s[42:43]
	s_cbranch_execz .LBB21_16
; %bb.15:                               ;   in Loop: Header=BB21_4 Depth=1
	v_cvt_f32_u32_e32 v3, s6
	s_sub_i32 s2, 0, s6
	v_mov_b32_e32 v13, v2
	v_rcp_iflag_f32_e32 v3, v3
	v_mul_f32_e32 v3, 0x4f7ffffe, v3
	v_cvt_u32_f32_e32 v3, v3
	v_mul_lo_u32 v12, s2, v3
	v_mul_hi_u32 v12, v3, v12
	v_add_u32_e32 v3, v3, v12
	v_mul_hi_u32 v3, v10, v3
	v_mul_lo_u32 v3, v3, s6
	v_sub_u32_e32 v3, v10, v3
	v_subrev_u32_e32 v12, s6, v3
	v_cmp_le_u32_e32 vcc, s6, v3
	v_cndmask_b32_e32 v3, v3, v12, vcc
	v_subrev_u32_e32 v12, s6, v3
	v_cmp_le_u32_e32 vcc, s6, v3
	v_cndmask_b32_e32 v12, v3, v12, vcc
.LBB21_16:                              ;   in Loop: Header=BB21_4 Depth=1
	s_or_b64 exec, exec, s[0:1]
	v_mad_u64_u32 v[16:17], s[0:1], s67, v10, v[0:1]
	v_mul_lo_u32 v3, s67, v11
	v_mul_lo_u32 v14, s68, v10
	v_add3_u32 v17, v14, v17, v3
	v_or_b32_e32 v3, s13, v17
	v_cmp_ne_u64_e32 vcc, 0, v[2:3]
                                        ; implicit-def: $vgpr14_vgpr15
	s_and_saveexec_b64 s[0:1], vcc
	s_xor_b64 s[2:3], exec, s[0:1]
	s_cbranch_execz .LBB21_18
; %bb.17:                               ;   in Loop: Header=BB21_4 Depth=1
	s_ashr_i32 s42, s13, 31
	s_add_u32 s0, s12, s42
	s_mov_b32 s43, s42
	s_addc_u32 s1, s13, s42
	s_xor_b64 s[44:45], s[0:1], s[42:43]
	v_cvt_f32_u32_e32 v3, s44
	v_cvt_f32_u32_e32 v14, s45
	s_sub_u32 s0, 0, s44
	s_subb_u32 s1, 0, s45
	v_mac_f32_e32 v3, 0x4f800000, v14
	v_rcp_f32_e32 v3, v3
	v_mul_f32_e32 v3, 0x5f7ffffc, v3
	v_mul_f32_e32 v14, 0x2f800000, v3
	v_trunc_f32_e32 v14, v14
	v_mac_f32_e32 v3, 0xcf800000, v14
	v_cvt_u32_f32_e32 v14, v14
	v_cvt_u32_f32_e32 v3, v3
	v_mul_lo_u32 v15, s0, v14
	v_mul_hi_u32 v19, s0, v3
	v_mul_lo_u32 v18, s1, v3
	v_add_u32_e32 v15, v19, v15
	v_mul_lo_u32 v20, s0, v3
	v_add_u32_e32 v15, v15, v18
	v_mul_lo_u32 v19, v3, v15
	v_mul_hi_u32 v21, v3, v20
	v_mul_hi_u32 v18, v3, v15
	v_add_co_u32_e32 v19, vcc, v21, v19
	v_addc_co_u32_e32 v18, vcc, 0, v18, vcc
	v_mul_hi_u32 v24, v14, v20
	v_mul_lo_u32 v20, v14, v20
	v_add_co_u32_e32 v19, vcc, v19, v20
	v_mul_hi_u32 v21, v14, v15
	v_addc_co_u32_e32 v18, vcc, v18, v24, vcc
	v_addc_co_u32_e32 v19, vcc, 0, v21, vcc
	v_mul_lo_u32 v15, v14, v15
	v_add_co_u32_e32 v15, vcc, v18, v15
	v_addc_co_u32_e32 v18, vcc, 0, v19, vcc
	v_add_co_u32_e32 v3, vcc, v3, v15
	v_addc_co_u32_e32 v14, vcc, v14, v18, vcc
	v_mul_lo_u32 v15, s0, v14
	v_mul_hi_u32 v18, s0, v3
	v_add_u32_e32 v15, v18, v15
	v_mul_lo_u32 v18, s1, v3
	v_add_u32_e32 v15, v15, v18
	v_mul_lo_u32 v19, s0, v3
	v_mul_hi_u32 v20, v14, v19
	v_mul_lo_u32 v21, v14, v19
	v_mul_lo_u32 v25, v3, v15
	v_mul_hi_u32 v19, v3, v19
	v_mul_hi_u32 v24, v3, v15
	v_add_co_u32_e32 v19, vcc, v19, v25
	v_addc_co_u32_e32 v24, vcc, 0, v24, vcc
	v_add_co_u32_e32 v19, vcc, v19, v21
	v_mul_hi_u32 v18, v14, v15
	v_addc_co_u32_e32 v19, vcc, v24, v20, vcc
	v_addc_co_u32_e32 v18, vcc, 0, v18, vcc
	v_mul_lo_u32 v15, v14, v15
	v_add_co_u32_e32 v15, vcc, v19, v15
	v_addc_co_u32_e32 v18, vcc, 0, v18, vcc
	v_add_co_u32_e32 v3, vcc, v3, v15
	v_addc_co_u32_e32 v18, vcc, v14, v18, vcc
	v_ashrrev_i32_e32 v19, 31, v17
	v_add_co_u32_e32 v14, vcc, v16, v19
	v_addc_co_u32_e32 v15, vcc, v17, v19, vcc
	v_xor_b32_e32 v21, v14, v19
	v_xor_b32_e32 v20, v15, v19
	v_mad_u64_u32 v[14:15], s[0:1], v21, v18, 0
	v_mul_hi_u32 v16, v21, v3
	v_add_co_u32_e32 v24, vcc, v16, v14
	v_addc_co_u32_e32 v25, vcc, 0, v15, vcc
	v_mad_u64_u32 v[16:17], s[0:1], v20, v3, 0
	v_add_co_u32_e32 v3, vcc, v24, v16
	v_mad_u64_u32 v[14:15], s[0:1], v20, v18, 0
	v_addc_co_u32_e32 v3, vcc, v25, v17, vcc
	v_addc_co_u32_e32 v15, vcc, 0, v15, vcc
	v_add_co_u32_e32 v3, vcc, v3, v14
	v_addc_co_u32_e32 v16, vcc, 0, v15, vcc
	v_mul_lo_u32 v17, s45, v3
	v_mul_lo_u32 v18, s44, v16
	v_mad_u64_u32 v[14:15], s[0:1], s44, v3, 0
	v_add3_u32 v15, v15, v18, v17
	v_sub_u32_e32 v17, v20, v15
	v_mov_b32_e32 v18, s45
	v_sub_co_u32_e32 v14, vcc, v21, v14
	v_subb_co_u32_e64 v17, s[0:1], v17, v18, vcc
	v_subrev_co_u32_e64 v18, s[0:1], s44, v14
	v_subbrev_co_u32_e64 v17, s[0:1], 0, v17, s[0:1]
	v_cmp_le_u32_e64 s[0:1], s45, v17
	v_cndmask_b32_e64 v21, 0, -1, s[0:1]
	v_cmp_le_u32_e64 s[0:1], s44, v18
	v_cndmask_b32_e64 v18, 0, -1, s[0:1]
	v_cmp_eq_u32_e64 s[0:1], s45, v17
	v_cndmask_b32_e64 v17, v21, v18, s[0:1]
	v_add_co_u32_e64 v18, s[0:1], 2, v3
	v_subb_co_u32_e32 v15, vcc, v20, v15, vcc
	v_addc_co_u32_e64 v21, s[0:1], 0, v16, s[0:1]
	v_cmp_le_u32_e32 vcc, s45, v15
	v_add_co_u32_e64 v24, s[0:1], 1, v3
	v_cndmask_b32_e64 v20, 0, -1, vcc
	v_cmp_le_u32_e32 vcc, s44, v14
	v_addc_co_u32_e64 v25, s[0:1], 0, v16, s[0:1]
	v_cndmask_b32_e64 v14, 0, -1, vcc
	v_cmp_eq_u32_e32 vcc, s45, v15
	v_cmp_ne_u32_e64 s[0:1], 0, v17
	v_cndmask_b32_e32 v14, v20, v14, vcc
	v_cmp_ne_u32_e32 vcc, 0, v14
	v_cndmask_b32_e64 v15, v24, v18, s[0:1]
	v_cndmask_b32_e64 v17, v25, v21, s[0:1]
	v_cndmask_b32_e32 v3, v3, v15, vcc
	v_xor_b32_e32 v15, s42, v19
	v_cndmask_b32_e32 v14, v16, v17, vcc
	v_xor_b32_e32 v3, v3, v15
	v_xor_b32_e32 v16, v14, v15
	v_sub_co_u32_e32 v14, vcc, v3, v15
	v_subb_co_u32_e32 v15, vcc, v16, v15, vcc
                                        ; implicit-def: $vgpr16_vgpr17
.LBB21_18:                              ;   in Loop: Header=BB21_4 Depth=1
	s_andn2_saveexec_b64 s[0:1], s[2:3]
	s_cbranch_execz .LBB21_20
; %bb.19:                               ;   in Loop: Header=BB21_4 Depth=1
	v_cvt_f32_u32_e32 v3, s12
	s_sub_i32 s2, 0, s12
	v_rcp_iflag_f32_e32 v3, v3
	v_mul_f32_e32 v3, 0x4f7ffffe, v3
	v_cvt_u32_f32_e32 v3, v3
	v_mul_lo_u32 v14, s2, v3
	v_mul_hi_u32 v14, v3, v14
	v_add_u32_e32 v3, v3, v14
	v_mul_hi_u32 v3, v16, v3
	v_mul_lo_u32 v14, v3, s12
	v_sub_u32_e32 v14, v16, v14
	v_add_u32_e32 v15, 1, v3
	v_subrev_u32_e32 v16, s12, v14
	v_cmp_le_u32_e32 vcc, s12, v14
	v_cndmask_b32_e32 v14, v14, v16, vcc
	v_cndmask_b32_e32 v3, v3, v15, vcc
	v_add_u32_e32 v15, 1, v3
	v_cmp_le_u32_e32 vcc, s12, v14
	v_cndmask_b32_e32 v14, v3, v15, vcc
	v_mov_b32_e32 v15, v2
.LBB21_20:                              ;   in Loop: Header=BB21_4 Depth=1
	s_or_b64 exec, exec, s[0:1]
	v_mul_lo_u32 v3, v11, s50
	v_mul_lo_u32 v18, v10, s33
	v_mad_u64_u32 v[16:17], s[0:1], v10, s50, 0
	v_add3_u32 v3, v17, v18, v3
	v_sub_co_u32_e32 v18, vcc, v0, v16
	v_subb_co_u32_e32 v3, vcc, v1, v3, vcc
	v_mul_lo_u32 v19, v15, s12
	v_mul_lo_u32 v20, v14, s13
	v_mad_u64_u32 v[16:17], s[0:1], v14, s12, 0
	v_add3_u32 v17, v17, v20, v19
	v_sub_co_u32_e32 v26, vcc, v18, v16
	v_subb_co_u32_e32 v27, vcc, v3, v17, vcc
	;; [unrolled: 6-line block ×3, first 2 shown]
	v_mul_lo_u32 v20, s13, v3
	v_mul_lo_u32 v21, s12, v24
	v_mad_u64_u32 v[16:17], s[0:1], s12, v3, 0
	v_mad_u64_u32 v[18:19], s[0:1], s12, v3, v[0:1]
	v_add3_u32 v17, v17, v21, v20
	v_add3_u32 v19, v20, v19, v21
	v_cmp_lt_i64_e32 vcc, 0, v[14:15]
	v_cmp_ge_i64_e64 s[0:1], s[18:19], v[14:15]
	s_and_b64 s[46:47], vcc, s[0:1]
	v_cmp_eq_u64_e32 vcc, v[16:17], v[4:5]
	v_cmp_lt_i64_e64 s[0:1], s[4:5], v[18:19]
	s_or_b64 s[42:43], vcc, s[0:1]
	v_cmp_gt_i64_e32 vcc, s[28:29], v[18:19]
	v_cmp_le_i64_e64 s[0:1], s[30:31], v[18:19]
	s_and_b64 s[2:3], vcc, s[0:1]
	v_mov_b32_e32 v25, 0
	s_and_saveexec_b64 s[44:45], s[46:47]
	s_cbranch_execz .LBB21_30
; %bb.21:                               ;   in Loop: Header=BB21_4 Depth=1
	v_mov_b32_e32 v18, s19
	v_sub_co_u32_e32 v20, vcc, s18, v14
	v_subb_co_u32_e32 v18, vcc, v18, v15, vcc
	v_mov_b32_e32 v21, s5
	v_add_co_u32_e32 v25, vcc, s4, v0
	v_mul_lo_u32 v28, v18, s51
	v_mul_lo_u32 v29, v20, s52
	v_mad_u64_u32 v[18:19], s[0:1], v20, s51, v[16:17]
	v_addc_co_u32_e32 v21, vcc, v21, v1, vcc
	v_add3_u32 v19, v28, v19, v29
	v_add_co_u32_e32 v18, vcc, v25, v18
	v_addc_co_u32_e32 v19, vcc, v21, v19, vcc
	v_cmp_gt_i64_e32 vcc, s[20:21], v[18:19]
	v_mov_b32_e32 v25, 0
	s_and_saveexec_b64 s[0:1], vcc
	s_cbranch_execz .LBB21_23
; %bb.22:                               ;   in Loop: Header=BB21_4 Depth=1
	v_mul_lo_u32 v21, s55, v8
	v_mul_lo_u32 v25, s56, v9
	v_mad_u64_u32 v[30:31], s[46:47], s56, v8, 0
	v_add3_u32 v31, v31, v25, v21
	v_mul_lo_u32 v21, v13, s20
	v_mul_lo_u32 v25, v12, s21
	v_mad_u64_u32 v[32:33], s[46:47], v12, s20, 0
	v_lshlrev_b64 v[30:31], 1, v[30:31]
	v_add3_u32 v33, v33, v25, v21
	v_mov_b32_e32 v21, s11
	v_add_co_u32_e32 v25, vcc, s10, v30
	v_addc_co_u32_e32 v21, vcc, v21, v31, vcc
	v_lshlrev_b64 v[30:31], 1, v[32:33]
	v_add_co_u32_e32 v25, vcc, v25, v30
	v_addc_co_u32_e32 v21, vcc, v21, v31, vcc
	v_lshlrev_b64 v[18:19], 1, v[18:19]
	v_add_co_u32_e32 v18, vcc, v25, v18
	v_addc_co_u32_e32 v19, vcc, v21, v19, vcc
	global_load_ushort v18, v[18:19], off
	s_waitcnt vmcnt(0)
	v_lshlrev_b32_e32 v18, 16, v18
	v_add_f32_e32 v19, 0, v18
	v_bfe_u32 v21, v19, 16, 1
	v_add3_u32 v19, v19, v21, s69
	v_lshrrev_b32_e32 v19, 16, v19
	v_cmp_o_f32_e32 vcc, v18, v18
	v_cndmask_b32_e32 v25, v22, v19, vcc
.LBB21_23:                              ;   in Loop: Header=BB21_4 Depth=1
	s_or_b64 exec, exec, s[0:1]
	v_mad_u64_u32 v[20:21], s[0:1], v20, s51, 0
	v_add3_u32 v21, v21, v29, v28
	s_mov_b64 s[48:49], 0
                                        ; implicit-def: $vgpr18_vgpr19
	s_and_saveexec_b64 s[0:1], s[42:43]
	s_xor_b64 s[46:47], exec, s[0:1]
	s_cbranch_execz .LBB21_49
; %bb.24:                               ;   in Loop: Header=BB21_4 Depth=1
	s_mov_b64 s[0:1], 0
                                        ; implicit-def: $vgpr18_vgpr19
	s_and_saveexec_b64 s[48:49], s[2:3]
	s_xor_b64 s[48:49], exec, s[48:49]
	s_cbranch_execz .LBB21_26
; %bb.25:                               ;   in Loop: Header=BB21_4 Depth=1
	v_mov_b32_e32 v18, s58
	v_sub_co_u32_e32 v19, vcc, s57, v26
	v_subb_co_u32_e32 v28, vcc, v18, v27, vcc
	v_add_co_u32_e32 v18, vcc, v19, v20
	v_addc_co_u32_e32 v19, vcc, v28, v21, vcc
	v_mad_u64_u32 v[28:29], s[0:1], s14, v10, v[14:15]
	v_mul_lo_u32 v30, s14, v11
	v_mul_lo_u32 v31, s15, v10
	v_add3_u32 v29, v31, v29, v30
	v_add_co_u32_e32 v28, vcc, 2, v28
	v_addc_co_u32_e32 v29, vcc, 0, v29, vcc
	v_mul_lo_u32 v29, s12, v29
	v_mul_lo_u32 v30, s13, v28
	v_mad_u64_u32 v[20:21], s[0:1], s12, v28, v[20:21]
	v_add3_u32 v21, v30, v21, v29
	v_mov_b32_e32 v28, s5
	v_add_co_u32_e32 v29, vcc, s4, v4
	v_addc_co_u32_e32 v28, vcc, v28, v5, vcc
	v_add_co_u32_e32 v20, vcc, v29, v20
	v_addc_co_u32_e32 v21, vcc, v28, v21, vcc
	v_add_co_u32_e32 v20, vcc, -2, v20
	v_addc_co_u32_e32 v21, vcc, -1, v21, vcc
	v_cmp_lt_i64_e32 vcc, -1, v[20:21]
	v_cmp_gt_i64_e64 s[0:1], s[20:21], v[20:21]
	s_and_b64 s[0:1], vcc, s[0:1]
	s_and_b64 s[0:1], s[0:1], exec
.LBB21_26:                              ;   in Loop: Header=BB21_4 Depth=1
	s_or_b64 exec, exec, s[48:49]
	s_and_b64 s[48:49], s[0:1], exec
                                        ; implicit-def: $vgpr20_vgpr21
	s_andn2_saveexec_b64 s[46:47], s[46:47]
	s_cbranch_execnz .LBB21_50
.LBB21_27:                              ;   in Loop: Header=BB21_4 Depth=1
	s_or_b64 exec, exec, s[46:47]
	s_and_saveexec_b64 s[0:1], s[48:49]
	s_cbranch_execz .LBB21_29
.LBB21_28:                              ;   in Loop: Header=BB21_4 Depth=1
	v_mul_lo_u32 v28, s55, v8
	v_mul_lo_u32 v29, s56, v9
	v_mad_u64_u32 v[20:21], s[46:47], s56, v8, 0
	v_add3_u32 v21, v21, v29, v28
	v_mul_lo_u32 v30, v13, s20
	v_mul_lo_u32 v31, v12, s21
	v_mad_u64_u32 v[28:29], s[46:47], v12, s20, 0
	v_lshlrev_b64 v[20:21], 1, v[20:21]
	v_add3_u32 v29, v29, v31, v30
	v_mov_b32_e32 v30, s11
	v_add_co_u32_e32 v31, vcc, s10, v20
	v_addc_co_u32_e32 v30, vcc, v30, v21, vcc
	v_lshlrev_b64 v[20:21], 1, v[28:29]
	v_add_co_u32_e32 v20, vcc, v31, v20
	v_addc_co_u32_e32 v21, vcc, v30, v21, vcc
	v_lshlrev_b64 v[18:19], 1, v[18:19]
	v_add_co_u32_e32 v18, vcc, v20, v18
	v_addc_co_u32_e32 v19, vcc, v21, v19, vcc
	global_load_ushort v18, v[18:19], off
	v_lshlrev_b32_e32 v19, 16, v25
	s_waitcnt vmcnt(0)
	v_lshlrev_b32_e32 v18, 16, v18
	v_add_f32_e32 v18, v18, v19
	v_bfe_u32 v19, v18, 16, 1
	v_add3_u32 v19, v18, v19, s69
	v_lshrrev_b32_e32 v19, 16, v19
	v_cmp_o_f32_e32 vcc, v18, v18
	v_cndmask_b32_e32 v25, v22, v19, vcc
.LBB21_29:                              ;   in Loop: Header=BB21_4 Depth=1
	s_or_b64 exec, exec, s[0:1]
.LBB21_30:                              ;   in Loop: Header=BB21_4 Depth=1
	s_or_b64 exec, exec, s[44:45]
	v_cmp_gt_i64_e32 vcc, s[24:25], v[14:15]
	v_cmp_le_i64_e64 s[0:1], s[26:27], v[14:15]
	s_and_b64 s[0:1], vcc, s[0:1]
	s_and_saveexec_b64 s[44:45], s[0:1]
	s_cbranch_execz .LBB21_40
; %bb.31:                               ;   in Loop: Header=BB21_4 Depth=1
	v_mov_b32_e32 v18, s60
	v_sub_co_u32_e32 v20, vcc, s59, v14
	v_subb_co_u32_e32 v18, vcc, v18, v15, vcc
	v_mov_b32_e32 v21, s5
	v_add_co_u32_e32 v30, vcc, s4, v0
	v_mul_lo_u32 v28, s52, v20
	v_mul_lo_u32 v29, s51, v18
	v_mad_u64_u32 v[18:19], s[0:1], s51, v20, v[16:17]
	v_addc_co_u32_e32 v21, vcc, v21, v1, vcc
	v_add3_u32 v19, v28, v19, v29
	v_add_co_u32_e32 v18, vcc, v30, v18
	v_addc_co_u32_e32 v19, vcc, v21, v19, vcc
	v_cmp_lt_i64_e32 vcc, -1, v[18:19]
	v_cmp_gt_i64_e64 s[0:1], s[20:21], v[18:19]
	s_and_b64 s[46:47], vcc, s[0:1]
	s_and_saveexec_b64 s[0:1], s[46:47]
	s_cbranch_execz .LBB21_33
; %bb.32:                               ;   in Loop: Header=BB21_4 Depth=1
	v_mul_lo_u32 v21, s55, v8
	v_mul_lo_u32 v32, s56, v9
	v_mad_u64_u32 v[30:31], s[46:47], s56, v8, 0
	v_add3_u32 v31, v31, v32, v21
	v_mul_lo_u32 v21, v13, s20
	v_mul_lo_u32 v34, v12, s21
	v_mad_u64_u32 v[32:33], s[46:47], v12, s20, 0
	v_lshlrev_b64 v[30:31], 1, v[30:31]
	v_add3_u32 v33, v33, v34, v21
	v_mov_b32_e32 v21, s11
	v_add_co_u32_e32 v34, vcc, s10, v30
	v_addc_co_u32_e32 v21, vcc, v21, v31, vcc
	v_lshlrev_b64 v[30:31], 1, v[32:33]
	v_add_co_u32_e32 v30, vcc, v34, v30
	v_addc_co_u32_e32 v21, vcc, v21, v31, vcc
	v_lshlrev_b64 v[18:19], 1, v[18:19]
	v_add_co_u32_e32 v18, vcc, v30, v18
	v_addc_co_u32_e32 v19, vcc, v21, v19, vcc
	global_load_ushort v18, v[18:19], off
	v_lshlrev_b32_e32 v19, 16, v25
	s_waitcnt vmcnt(0)
	v_lshlrev_b32_e32 v18, 16, v18
	v_add_f32_e32 v18, v18, v19
	v_bfe_u32 v19, v18, 16, 1
	v_add3_u32 v19, v18, v19, s69
	v_lshrrev_b32_e32 v19, 16, v19
	v_cmp_o_f32_e32 vcc, v18, v18
	v_cndmask_b32_e32 v25, v22, v19, vcc
.LBB21_33:                              ;   in Loop: Header=BB21_4 Depth=1
	s_or_b64 exec, exec, s[0:1]
	v_mad_u64_u32 v[20:21], s[0:1], s51, v20, 0
	v_add3_u32 v21, v21, v29, v28
	s_mov_b64 s[48:49], 0
                                        ; implicit-def: $vgpr18_vgpr19
	s_and_saveexec_b64 s[0:1], s[42:43]
	s_xor_b64 s[46:47], exec, s[0:1]
	s_cbranch_execz .LBB21_51
; %bb.34:                               ;   in Loop: Header=BB21_4 Depth=1
	s_mov_b64 s[0:1], 0
                                        ; implicit-def: $vgpr18_vgpr19
	s_and_saveexec_b64 s[48:49], s[2:3]
	s_xor_b64 s[48:49], exec, s[48:49]
	s_cbranch_execz .LBB21_36
; %bb.35:                               ;   in Loop: Header=BB21_4 Depth=1
	v_mov_b32_e32 v18, s62
	v_add_co_u32_e32 v19, vcc, s61, v20
	v_addc_co_u32_e32 v28, vcc, v18, v21, vcc
	v_sub_co_u32_e32 v18, vcc, v19, v26
	v_subb_co_u32_e32 v19, vcc, v28, v27, vcc
	v_mad_u64_u32 v[26:27], s[0:1], s14, v10, v[14:15]
	v_mul_lo_u32 v28, s14, v11
	v_mul_lo_u32 v29, s15, v10
	v_add3_u32 v27, v29, v27, v28
	v_add_co_u32_e32 v26, vcc, 2, v26
	v_addc_co_u32_e32 v27, vcc, 0, v27, vcc
	v_mul_lo_u32 v27, s12, v27
	v_mul_lo_u32 v28, s13, v26
	v_mad_u64_u32 v[20:21], s[0:1], s12, v26, v[20:21]
	v_add3_u32 v21, v28, v21, v27
	v_mov_b32_e32 v26, s5
	v_add_co_u32_e32 v27, vcc, s4, v4
	v_addc_co_u32_e32 v26, vcc, v26, v5, vcc
	v_add_co_u32_e32 v20, vcc, v27, v20
	v_addc_co_u32_e32 v21, vcc, v26, v21, vcc
	v_add_co_u32_e32 v20, vcc, -2, v20
	v_addc_co_u32_e32 v21, vcc, -1, v21, vcc
	v_cmp_lt_i64_e32 vcc, -1, v[20:21]
	v_cmp_gt_i64_e64 s[0:1], s[20:21], v[20:21]
	s_and_b64 s[0:1], vcc, s[0:1]
	s_and_b64 s[0:1], s[0:1], exec
.LBB21_36:                              ;   in Loop: Header=BB21_4 Depth=1
	s_or_b64 exec, exec, s[48:49]
	s_and_b64 s[48:49], s[0:1], exec
                                        ; implicit-def: $vgpr20_vgpr21
	s_andn2_saveexec_b64 s[46:47], s[46:47]
	s_cbranch_execnz .LBB21_52
.LBB21_37:                              ;   in Loop: Header=BB21_4 Depth=1
	s_or_b64 exec, exec, s[46:47]
	s_and_saveexec_b64 s[0:1], s[48:49]
	s_cbranch_execz .LBB21_39
.LBB21_38:                              ;   in Loop: Header=BB21_4 Depth=1
	v_mul_lo_u32 v26, s55, v8
	v_mul_lo_u32 v27, s56, v9
	v_mad_u64_u32 v[20:21], s[46:47], s56, v8, 0
	v_add3_u32 v21, v21, v27, v26
	v_mul_lo_u32 v28, v13, s20
	v_mul_lo_u32 v29, v12, s21
	v_mad_u64_u32 v[26:27], s[46:47], v12, s20, 0
	v_lshlrev_b64 v[20:21], 1, v[20:21]
	v_add3_u32 v27, v27, v29, v28
	v_mov_b32_e32 v28, s11
	v_add_co_u32_e32 v29, vcc, s10, v20
	v_addc_co_u32_e32 v28, vcc, v28, v21, vcc
	v_lshlrev_b64 v[20:21], 1, v[26:27]
	v_add_co_u32_e32 v20, vcc, v29, v20
	v_addc_co_u32_e32 v21, vcc, v28, v21, vcc
	v_lshlrev_b64 v[18:19], 1, v[18:19]
	v_add_co_u32_e32 v18, vcc, v20, v18
	v_addc_co_u32_e32 v19, vcc, v21, v19, vcc
	global_load_ushort v18, v[18:19], off
	v_lshlrev_b32_e32 v19, 16, v25
	s_waitcnt vmcnt(0)
	v_lshlrev_b32_e32 v18, 16, v18
	v_add_f32_e32 v18, v18, v19
	v_bfe_u32 v19, v18, 16, 1
	v_add3_u32 v19, v18, v19, s69
	v_lshrrev_b32_e32 v19, 16, v19
	v_cmp_o_f32_e32 vcc, v18, v18
	v_cndmask_b32_e32 v25, v22, v19, vcc
.LBB21_39:                              ;   in Loop: Header=BB21_4 Depth=1
	s_or_b64 exec, exec, s[0:1]
.LBB21_40:                              ;   in Loop: Header=BB21_4 Depth=1
	s_or_b64 exec, exec, s[44:45]
                                        ; implicit-def: $vgpr18_vgpr19
	s_and_saveexec_b64 s[0:1], s[42:43]
	s_xor_b64 s[0:1], exec, s[0:1]
	s_cbranch_execz .LBB21_43
; %bb.41:                               ;   in Loop: Header=BB21_4 Depth=1
	v_mov_b32_e32 v16, s19
	v_add_co_u32_e32 v17, vcc, s18, v14
	v_addc_co_u32_e32 v16, vcc, v15, v16, vcc
	v_mul_lo_u32 v16, v16, s51
	v_mul_lo_u32 v20, v17, s52
	v_mad_u64_u32 v[18:19], s[42:43], v17, s51, 0
	v_add3_u32 v19, v19, v20, v16
                                        ; implicit-def: $vgpr16_vgpr17
	s_andn2_saveexec_b64 s[42:43], s[0:1]
	s_cbranch_execnz .LBB21_44
.LBB21_42:                              ;   in Loop: Header=BB21_4 Depth=1
	s_or_b64 exec, exec, s[42:43]
	s_and_saveexec_b64 s[42:43], s[2:3]
	s_cbranch_execz .LBB21_3
	s_branch .LBB21_47
.LBB21_43:                              ;   in Loop: Header=BB21_4 Depth=1
	s_andn2_saveexec_b64 s[42:43], s[0:1]
	s_cbranch_execz .LBB21_42
.LBB21_44:                              ;   in Loop: Header=BB21_4 Depth=1
	v_mov_b32_e32 v18, s19
	v_add_co_u32_e32 v19, vcc, s18, v14
	v_addc_co_u32_e32 v18, vcc, v15, v18, vcc
	v_mul_lo_u32 v20, v18, s51
	v_mul_lo_u32 v21, v19, s52
	v_mad_u64_u32 v[18:19], s[0:1], v19, s51, 0
	v_add3_u32 v19, v19, v21, v20
	v_sub_co_u32_e32 v16, vcc, v18, v16
	v_subb_co_u32_e32 v17, vcc, v19, v17, vcc
	v_mov_b32_e32 v20, s5
	v_add_co_u32_e32 v21, vcc, s4, v4
	v_addc_co_u32_e32 v20, vcc, v20, v5, vcc
	v_add_co_u32_e32 v16, vcc, v21, v16
	v_addc_co_u32_e32 v17, vcc, v20, v17, vcc
	v_cmp_lt_i64_e32 vcc, -1, v[16:17]
	v_cmp_gt_i64_e64 s[0:1], s[20:21], v[16:17]
	s_and_b64 s[44:45], vcc, s[0:1]
	s_and_saveexec_b64 s[0:1], s[44:45]
	s_cbranch_execz .LBB21_46
; %bb.45:                               ;   in Loop: Header=BB21_4 Depth=1
	v_mul_lo_u32 v26, s55, v8
	v_mul_lo_u32 v27, s56, v9
	v_mad_u64_u32 v[20:21], s[44:45], s56, v8, 0
	v_add3_u32 v21, v21, v27, v26
	v_mul_lo_u32 v28, v13, s20
	v_mul_lo_u32 v29, v12, s21
	v_mad_u64_u32 v[26:27], s[44:45], v12, s20, 0
	v_lshlrev_b64 v[20:21], 1, v[20:21]
	v_add3_u32 v27, v27, v29, v28
	v_mov_b32_e32 v28, s11
	v_add_co_u32_e32 v29, vcc, s10, v20
	v_addc_co_u32_e32 v28, vcc, v28, v21, vcc
	v_lshlrev_b64 v[20:21], 1, v[26:27]
	v_add_co_u32_e32 v20, vcc, v29, v20
	v_addc_co_u32_e32 v21, vcc, v28, v21, vcc
	v_lshlrev_b64 v[16:17], 1, v[16:17]
	v_add_co_u32_e32 v16, vcc, v20, v16
	v_addc_co_u32_e32 v17, vcc, v21, v17, vcc
	global_load_ushort v16, v[16:17], off
	v_lshlrev_b32_e32 v17, 16, v25
	s_waitcnt vmcnt(0)
	v_lshlrev_b32_e32 v16, 16, v16
	v_add_f32_e32 v16, v16, v17
	v_bfe_u32 v17, v16, 16, 1
	v_add3_u32 v17, v16, v17, s69
	v_lshrrev_b32_e32 v17, 16, v17
	v_cmp_o_f32_e32 vcc, v16, v16
	v_cndmask_b32_e32 v25, v22, v17, vcc
.LBB21_46:                              ;   in Loop: Header=BB21_4 Depth=1
	s_or_b64 exec, exec, s[0:1]
	s_or_b64 exec, exec, s[42:43]
	s_and_saveexec_b64 s[42:43], s[2:3]
	s_cbranch_execz .LBB21_3
.LBB21_47:                              ;   in Loop: Header=BB21_4 Depth=1
	v_mad_u64_u32 v[14:15], s[0:1], s14, v10, v[14:15]
	v_mul_lo_u32 v11, s14, v11
	v_mul_lo_u32 v10, s15, v10
	v_add3_u32 v10, v10, v15, v11
	v_add_co_u32_e32 v11, vcc, 2, v14
	v_addc_co_u32_e32 v10, vcc, 0, v10, vcc
	v_mul_lo_u32 v14, s12, v10
	v_mul_lo_u32 v15, s13, v11
	v_mad_u64_u32 v[10:11], s[0:1], s12, v11, v[18:19]
	v_add3_u32 v11, v15, v11, v14
	v_mov_b32_e32 v14, s5
	v_add_co_u32_e32 v15, vcc, s4, v4
	v_addc_co_u32_e32 v14, vcc, v14, v5, vcc
	v_add_co_u32_e32 v10, vcc, v15, v10
	v_addc_co_u32_e32 v11, vcc, v14, v11, vcc
	v_add_co_u32_e32 v10, vcc, -2, v10
	v_addc_co_u32_e32 v11, vcc, -1, v11, vcc
	v_cmp_lt_i64_e32 vcc, -1, v[10:11]
	v_cmp_gt_i64_e64 s[0:1], s[20:21], v[10:11]
	s_and_b64 s[2:3], vcc, s[0:1]
	s_and_saveexec_b64 s[0:1], s[2:3]
	s_cbranch_execz .LBB21_2
; %bb.48:                               ;   in Loop: Header=BB21_4 Depth=1
	v_mul_lo_u32 v16, s55, v8
	v_mul_lo_u32 v17, s56, v9
	v_mad_u64_u32 v[14:15], s[2:3], s56, v8, 0
	v_add3_u32 v15, v15, v17, v16
	v_mul_lo_u32 v20, v13, s20
	v_mul_lo_u32 v21, v12, s21
	v_mad_u64_u32 v[16:17], s[2:3], v12, s20, 0
	v_lshlrev_b64 v[14:15], 1, v[14:15]
	v_add3_u32 v17, v17, v21, v20
	v_mov_b32_e32 v20, s11
	v_add_co_u32_e32 v21, vcc, s10, v14
	v_addc_co_u32_e32 v20, vcc, v20, v15, vcc
	v_lshlrev_b64 v[14:15], 1, v[16:17]
	v_add_co_u32_e32 v14, vcc, v21, v14
	v_addc_co_u32_e32 v15, vcc, v20, v15, vcc
	v_lshlrev_b64 v[10:11], 1, v[10:11]
	v_add_co_u32_e32 v10, vcc, v14, v10
	v_addc_co_u32_e32 v11, vcc, v15, v11, vcc
	global_load_ushort v10, v[10:11], off
	v_lshlrev_b32_e32 v11, 16, v25
	s_waitcnt vmcnt(0)
	v_lshlrev_b32_e32 v10, 16, v10
	v_add_f32_e32 v10, v10, v11
	v_bfe_u32 v11, v10, 16, 1
	v_add3_u32 v11, v10, v11, s69
	v_lshrrev_b32_e32 v11, 16, v11
	v_cmp_o_f32_e32 vcc, v10, v10
	v_cndmask_b32_e32 v25, v22, v11, vcc
	s_branch .LBB21_2
.LBB21_49:                              ;   in Loop: Header=BB21_4 Depth=1
	s_andn2_saveexec_b64 s[46:47], s[46:47]
	s_cbranch_execz .LBB21_27
.LBB21_50:                              ;   in Loop: Header=BB21_4 Depth=1
	v_sub_co_u32_e32 v18, vcc, v20, v16
	v_subb_co_u32_e32 v19, vcc, v21, v17, vcc
	v_mov_b32_e32 v20, s5
	v_add_co_u32_e32 v21, vcc, s4, v4
	v_addc_co_u32_e32 v20, vcc, v20, v5, vcc
	v_add_co_u32_e32 v18, vcc, v21, v18
	v_addc_co_u32_e32 v19, vcc, v20, v19, vcc
	v_cmp_lt_i64_e32 vcc, -1, v[18:19]
	v_cmp_gt_i64_e64 s[0:1], s[20:21], v[18:19]
	s_and_b64 s[0:1], vcc, s[0:1]
	s_andn2_b64 s[48:49], s[48:49], exec
	s_and_b64 s[0:1], s[0:1], exec
	s_or_b64 s[48:49], s[48:49], s[0:1]
	s_or_b64 exec, exec, s[46:47]
	s_and_saveexec_b64 s[0:1], s[48:49]
	s_cbranch_execnz .LBB21_28
	s_branch .LBB21_29
.LBB21_51:                              ;   in Loop: Header=BB21_4 Depth=1
	s_andn2_saveexec_b64 s[46:47], s[46:47]
	s_cbranch_execz .LBB21_37
.LBB21_52:                              ;   in Loop: Header=BB21_4 Depth=1
	v_sub_co_u32_e32 v18, vcc, v20, v16
	v_subb_co_u32_e32 v19, vcc, v21, v17, vcc
	v_mov_b32_e32 v20, s5
	v_add_co_u32_e32 v21, vcc, s4, v4
	v_addc_co_u32_e32 v20, vcc, v20, v5, vcc
	v_add_co_u32_e32 v18, vcc, v21, v18
	v_addc_co_u32_e32 v19, vcc, v20, v19, vcc
	v_cmp_lt_i64_e32 vcc, -1, v[18:19]
	v_cmp_gt_i64_e64 s[0:1], s[20:21], v[18:19]
	s_and_b64 s[0:1], vcc, s[0:1]
	s_andn2_b64 s[48:49], s[48:49], exec
	s_and_b64 s[0:1], s[0:1], exec
	s_or_b64 s[48:49], s[48:49], s[0:1]
	s_or_b64 exec, exec, s[46:47]
	s_and_saveexec_b64 s[0:1], s[48:49]
	s_cbranch_execnz .LBB21_38
	s_branch .LBB21_39
.LBB21_53:
	s_endpgm
	.section	.rodata,"a",@progbits
	.p2align	6, 0x0
	.amdhsa_kernel _ZN2at6native12_GLOBAL__N_140reflection_pad2d_backward_det_out_kernelIN3c108BFloat16EEEvPT_PKS5_lliiiiiii
		.amdhsa_group_segment_fixed_size 0
		.amdhsa_private_segment_fixed_size 0
		.amdhsa_kernarg_size 320
		.amdhsa_user_sgpr_count 6
		.amdhsa_user_sgpr_private_segment_buffer 1
		.amdhsa_user_sgpr_dispatch_ptr 0
		.amdhsa_user_sgpr_queue_ptr 0
		.amdhsa_user_sgpr_kernarg_segment_ptr 1
		.amdhsa_user_sgpr_dispatch_id 0
		.amdhsa_user_sgpr_flat_scratch_init 0
		.amdhsa_user_sgpr_kernarg_preload_length 0
		.amdhsa_user_sgpr_kernarg_preload_offset 0
		.amdhsa_user_sgpr_private_segment_size 0
		.amdhsa_uses_dynamic_stack 0
		.amdhsa_system_sgpr_private_segment_wavefront_offset 0
		.amdhsa_system_sgpr_workgroup_id_x 1
		.amdhsa_system_sgpr_workgroup_id_y 0
		.amdhsa_system_sgpr_workgroup_id_z 0
		.amdhsa_system_sgpr_workgroup_info 0
		.amdhsa_system_vgpr_workitem_id 0
		.amdhsa_next_free_vgpr 35
		.amdhsa_next_free_sgpr 70
		.amdhsa_accum_offset 36
		.amdhsa_reserve_vcc 1
		.amdhsa_reserve_flat_scratch 0
		.amdhsa_float_round_mode_32 0
		.amdhsa_float_round_mode_16_64 0
		.amdhsa_float_denorm_mode_32 3
		.amdhsa_float_denorm_mode_16_64 3
		.amdhsa_dx10_clamp 1
		.amdhsa_ieee_mode 1
		.amdhsa_fp16_overflow 0
		.amdhsa_tg_split 0
		.amdhsa_exception_fp_ieee_invalid_op 0
		.amdhsa_exception_fp_denorm_src 0
		.amdhsa_exception_fp_ieee_div_zero 0
		.amdhsa_exception_fp_ieee_overflow 0
		.amdhsa_exception_fp_ieee_underflow 0
		.amdhsa_exception_fp_ieee_inexact 0
		.amdhsa_exception_int_div_zero 0
	.end_amdhsa_kernel
	.section	.text._ZN2at6native12_GLOBAL__N_140reflection_pad2d_backward_det_out_kernelIN3c108BFloat16EEEvPT_PKS5_lliiiiiii,"axG",@progbits,_ZN2at6native12_GLOBAL__N_140reflection_pad2d_backward_det_out_kernelIN3c108BFloat16EEEvPT_PKS5_lliiiiiii,comdat
.Lfunc_end21:
	.size	_ZN2at6native12_GLOBAL__N_140reflection_pad2d_backward_det_out_kernelIN3c108BFloat16EEEvPT_PKS5_lliiiiiii, .Lfunc_end21-_ZN2at6native12_GLOBAL__N_140reflection_pad2d_backward_det_out_kernelIN3c108BFloat16EEEvPT_PKS5_lliiiiiii
                                        ; -- End function
	.section	.AMDGPU.csdata,"",@progbits
; Kernel info:
; codeLenInByte = 6392
; NumSgprs: 74
; NumVgprs: 35
; NumAgprs: 0
; TotalNumVgprs: 35
; ScratchSize: 0
; MemoryBound: 0
; FloatMode: 240
; IeeeMode: 1
; LDSByteSize: 0 bytes/workgroup (compile time only)
; SGPRBlocks: 9
; VGPRBlocks: 4
; NumSGPRsForWavesPerEU: 74
; NumVGPRsForWavesPerEU: 35
; AccumOffset: 36
; Occupancy: 8
; WaveLimiterHint : 0
; COMPUTE_PGM_RSRC2:SCRATCH_EN: 0
; COMPUTE_PGM_RSRC2:USER_SGPR: 6
; COMPUTE_PGM_RSRC2:TRAP_HANDLER: 0
; COMPUTE_PGM_RSRC2:TGID_X_EN: 1
; COMPUTE_PGM_RSRC2:TGID_Y_EN: 0
; COMPUTE_PGM_RSRC2:TGID_Z_EN: 0
; COMPUTE_PGM_RSRC2:TIDIG_COMP_CNT: 0
; COMPUTE_PGM_RSRC3_GFX90A:ACCUM_OFFSET: 8
; COMPUTE_PGM_RSRC3_GFX90A:TG_SPLIT: 0
	.section	.text._ZN2at6native12_GLOBAL__N_136reflection_pad2d_backward_out_kernelIN3c108BFloat16EEEvPT_PKS5_lliiiiiii,"axG",@progbits,_ZN2at6native12_GLOBAL__N_136reflection_pad2d_backward_out_kernelIN3c108BFloat16EEEvPT_PKS5_lliiiiiii,comdat
	.globl	_ZN2at6native12_GLOBAL__N_136reflection_pad2d_backward_out_kernelIN3c108BFloat16EEEvPT_PKS5_lliiiiiii ; -- Begin function _ZN2at6native12_GLOBAL__N_136reflection_pad2d_backward_out_kernelIN3c108BFloat16EEEvPT_PKS5_lliiiiiii
	.p2align	8
	.type	_ZN2at6native12_GLOBAL__N_136reflection_pad2d_backward_out_kernelIN3c108BFloat16EEEvPT_PKS5_lliiiiiii,@function
_ZN2at6native12_GLOBAL__N_136reflection_pad2d_backward_out_kernelIN3c108BFloat16EEEvPT_PKS5_lliiiiiii: ; @_ZN2at6native12_GLOBAL__N_136reflection_pad2d_backward_out_kernelIN3c108BFloat16EEEvPT_PKS5_lliiiiiii
; %bb.0:
	s_load_dword s9, s[4:5], 0x4c
	s_load_dwordx4 s[0:3], s[4:5], 0x20
	s_load_dwordx8 s[12:19], s[4:5], 0x0
	v_mov_b32_e32 v1, 0
	s_waitcnt lgkmcnt(0)
	s_and_b32 s9, s9, 0xffff
	s_ashr_i32 s11, s2, 31
	s_add_u32 s31, s2, s16
	s_mul_i32 s6, s6, s9
	s_mov_b32 s10, s2
	s_addc_u32 s33, s11, s17
	s_ashr_i32 s2, s3, 31
	v_add_u32_e32 v0, s6, v0
	s_add_u32 s6, s31, s3
	s_addc_u32 s3, s33, s2
	s_ashr_i32 s25, s0, 31
	s_add_u32 s34, s0, s18
	s_mov_b32 s24, s0
	s_addc_u32 s35, s25, s19
	s_ashr_i32 s0, s1, 31
	s_add_u32 s9, s34, s1
	s_addc_u32 s30, s35, s0
	s_mul_i32 s0, s6, s30
	s_mul_hi_u32 s1, s6, s9
	s_add_i32 s0, s1, s0
	s_mul_i32 s1, s3, s9
	s_add_i32 s1, s0, s1
	s_mul_i32 s0, s6, s9
	v_cmp_gt_i64_e32 vcc, s[0:1], v[0:1]
	s_and_saveexec_b64 s[0:1], vcc
	s_cbranch_execz .LBB22_10
; %bb.1:
	s_load_dwordx4 s[20:23], s[4:5], 0x30
	s_mov_b32 s2, 0
	s_cmp_lg_u64 s[2:3], 0
	s_cbranch_scc0 .LBB22_11
; %bb.2:
	s_ashr_i32 s26, s3, 31
	s_add_u32 s0, s6, s26
	s_mov_b32 s27, s26
	s_addc_u32 s1, s3, s26
	s_xor_b64 s[28:29], s[0:1], s[26:27]
	v_cvt_f32_u32_e32 v1, s28
	v_cvt_f32_u32_e32 v2, s29
	s_sub_u32 s0, 0, s28
	s_subb_u32 s1, 0, s29
	v_madmk_f32 v1, v2, 0x4f800000, v1
	v_rcp_f32_e32 v1, v1
	v_mul_f32_e32 v1, 0x5f7ffffc, v1
	v_mul_f32_e32 v2, 0x2f800000, v1
	v_trunc_f32_e32 v2, v2
	v_madmk_f32 v1, v2, 0xcf800000, v1
	v_cvt_u32_f32_e32 v2, v2
	v_cvt_u32_f32_e32 v1, v1
	v_mul_lo_u32 v3, s0, v2
	v_mul_hi_u32 v5, s0, v1
	v_mul_lo_u32 v4, s1, v1
	v_add_u32_e32 v3, v5, v3
	v_add_u32_e32 v3, v3, v4
	v_mul_lo_u32 v6, s0, v1
	v_mul_lo_u32 v5, v1, v3
	v_mul_hi_u32 v7, v1, v6
	v_mul_hi_u32 v4, v1, v3
	v_add_co_u32_e32 v5, vcc, v7, v5
	v_addc_co_u32_e32 v4, vcc, 0, v4, vcc
	v_mul_hi_u32 v8, v2, v6
	v_mul_lo_u32 v6, v2, v6
	v_add_co_u32_e32 v5, vcc, v5, v6
	v_mul_hi_u32 v7, v2, v3
	v_addc_co_u32_e32 v4, vcc, v4, v8, vcc
	v_addc_co_u32_e32 v5, vcc, 0, v7, vcc
	v_mul_lo_u32 v3, v2, v3
	v_add_co_u32_e32 v3, vcc, v4, v3
	v_addc_co_u32_e32 v4, vcc, 0, v5, vcc
	v_add_co_u32_e32 v1, vcc, v1, v3
	v_addc_co_u32_e32 v2, vcc, v2, v4, vcc
	v_mul_lo_u32 v3, s0, v2
	v_mul_hi_u32 v4, s0, v1
	v_add_u32_e32 v3, v4, v3
	v_mul_lo_u32 v4, s1, v1
	v_add_u32_e32 v3, v3, v4
	v_mul_lo_u32 v5, s0, v1
	v_mul_hi_u32 v6, v2, v5
	v_mul_lo_u32 v7, v2, v5
	v_mul_lo_u32 v9, v1, v3
	v_mul_hi_u32 v5, v1, v5
	v_mul_hi_u32 v8, v1, v3
	v_add_co_u32_e32 v5, vcc, v5, v9
	v_addc_co_u32_e32 v8, vcc, 0, v8, vcc
	v_add_co_u32_e32 v5, vcc, v5, v7
	v_mul_hi_u32 v4, v2, v3
	v_addc_co_u32_e32 v5, vcc, v8, v6, vcc
	v_addc_co_u32_e32 v4, vcc, 0, v4, vcc
	v_mul_lo_u32 v3, v2, v3
	v_add_co_u32_e32 v3, vcc, v5, v3
	v_addc_co_u32_e32 v4, vcc, 0, v4, vcc
	v_add_co_u32_e32 v1, vcc, v1, v3
	v_addc_co_u32_e32 v4, vcc, v2, v4, vcc
	v_ashrrev_i32_e64 v6, 31, 0
	v_add_co_u32_e32 v2, vcc, v0, v6
	v_addc_co_u32_e32 v3, vcc, 0, v6, vcc
	v_xor_b32_e32 v8, v2, v6
	v_xor_b32_e32 v7, v3, v6
	v_mad_u64_u32 v[2:3], s[0:1], v8, v4, 0
	v_mul_hi_u32 v5, v8, v1
	v_add_co_u32_e32 v9, vcc, v5, v2
	v_addc_co_u32_e32 v10, vcc, 0, v3, vcc
	v_mad_u64_u32 v[2:3], s[0:1], v7, v4, 0
	v_mad_u64_u32 v[4:5], s[0:1], v7, v1, 0
	v_add_co_u32_e32 v1, vcc, v9, v4
	v_addc_co_u32_e32 v1, vcc, v10, v5, vcc
	v_addc_co_u32_e32 v3, vcc, 0, v3, vcc
	v_add_co_u32_e32 v1, vcc, v1, v2
	v_addc_co_u32_e32 v4, vcc, 0, v3, vcc
	v_mul_lo_u32 v5, s29, v1
	v_mul_lo_u32 v9, s28, v4
	v_mad_u64_u32 v[2:3], s[0:1], s28, v1, 0
	v_add3_u32 v3, v3, v9, v5
	v_sub_u32_e32 v5, v7, v3
	v_mov_b32_e32 v9, s29
	v_sub_co_u32_e32 v2, vcc, v8, v2
	v_subb_co_u32_e64 v5, s[0:1], v5, v9, vcc
	v_subrev_co_u32_e64 v8, s[0:1], s28, v2
	v_subbrev_co_u32_e64 v5, s[0:1], 0, v5, s[0:1]
	v_cmp_le_u32_e64 s[0:1], s29, v5
	v_cndmask_b32_e64 v9, 0, -1, s[0:1]
	v_cmp_le_u32_e64 s[0:1], s28, v8
	v_cndmask_b32_e64 v8, 0, -1, s[0:1]
	v_cmp_eq_u32_e64 s[0:1], s29, v5
	v_cndmask_b32_e64 v5, v9, v8, s[0:1]
	v_add_co_u32_e64 v8, s[0:1], 2, v1
	v_subb_co_u32_e32 v3, vcc, v7, v3, vcc
	v_addc_co_u32_e64 v9, s[0:1], 0, v4, s[0:1]
	v_cmp_le_u32_e32 vcc, s29, v3
	v_add_co_u32_e64 v10, s[0:1], 1, v1
	v_cndmask_b32_e64 v7, 0, -1, vcc
	v_cmp_le_u32_e32 vcc, s28, v2
	v_addc_co_u32_e64 v11, s[0:1], 0, v4, s[0:1]
	v_cndmask_b32_e64 v2, 0, -1, vcc
	v_cmp_eq_u32_e32 vcc, s29, v3
	v_cmp_ne_u32_e64 s[0:1], 0, v5
	v_cndmask_b32_e32 v2, v7, v2, vcc
	v_cmp_ne_u32_e32 vcc, 0, v2
	v_cndmask_b32_e64 v3, v10, v8, s[0:1]
	v_cndmask_b32_e64 v5, v11, v9, s[0:1]
	v_cndmask_b32_e32 v1, v1, v3, vcc
	v_xor_b32_e32 v3, s26, v6
	v_cndmask_b32_e32 v2, v4, v5, vcc
	v_xor_b32_e32 v1, v1, v3
	v_xor_b32_e32 v4, v2, v3
	v_sub_co_u32_e32 v2, vcc, v1, v3
	v_subb_co_u32_e32 v3, vcc, v4, v3, vcc
	s_cbranch_execnz .LBB22_4
.LBB22_3:
	v_cvt_f32_u32_e32 v1, s6
	s_sub_i32 s0, 0, s6
	v_rcp_iflag_f32_e32 v1, v1
	v_mul_f32_e32 v1, 0x4f7ffffe, v1
	v_cvt_u32_f32_e32 v1, v1
	v_mul_lo_u32 v2, s0, v1
	v_mul_hi_u32 v2, v1, v2
	v_add_u32_e32 v1, v1, v2
	v_mul_hi_u32 v1, v0, v1
	v_mul_lo_u32 v2, v1, s6
	v_sub_u32_e32 v2, v0, v2
	v_add_u32_e32 v3, 1, v1
	v_subrev_u32_e32 v4, s6, v2
	v_cmp_le_u32_e32 vcc, s6, v2
	v_cndmask_b32_e32 v2, v2, v4, vcc
	v_cndmask_b32_e32 v1, v1, v3, vcc
	v_add_u32_e32 v3, 1, v1
	v_cmp_le_u32_e32 vcc, s6, v2
	v_cndmask_b32_e32 v2, v1, v3, vcc
	v_mov_b32_e32 v3, 0
.LBB22_4:
	s_sub_u32 s0, 0, s24
	s_subb_u32 s1, 0, s25
	s_sub_u32 s4, 0, s10
	s_subb_u32 s5, 0, s11
	s_waitcnt lgkmcnt(0)
	s_add_i32 s2, s7, s20
	s_add_i32 s7, s8, s21
	s_mul_i32 s7, s7, s22
	s_add_i32 s2, s2, s7
	s_mul_i32 s7, s2, s19
	s_mul_hi_u32 s8, s2, s18
	s_add_i32 s8, s8, s7
	s_mul_i32 s7, s2, s18
	v_mul_lo_u32 v1, v3, s6
	v_mul_lo_u32 v6, v2, s3
	v_mad_u64_u32 v[4:5], s[18:19], v2, s6, 0
	v_add3_u32 v1, v5, v6, v1
	v_sub_co_u32_e32 v0, vcc, v0, v4
	v_subb_co_u32_e32 v1, vcc, 0, v1, vcc
	v_mov_b32_e32 v5, s11
	v_subrev_co_u32_e32 v4, vcc, s10, v0
	v_subb_co_u32_e32 v5, vcc, v1, v5, vcc
	v_ashrrev_i32_e32 v6, 31, v5
	v_xor_b32_e32 v4, v4, v6
	v_xor_b32_e32 v5, v5, v6
	v_sub_co_u32_e32 v4, vcc, v4, v6
	v_subb_co_u32_e32 v5, vcc, v5, v6, vcc
	v_mov_b32_e32 v6, s33
	v_subrev_co_u32_e32 v7, vcc, s31, v0
	v_subb_co_u32_e32 v6, vcc, v1, v6, vcc
	v_add_co_u32_e32 v7, vcc, 1, v7
	v_addc_co_u32_e32 v6, vcc, 0, v6, vcc
	v_ashrrev_i32_e32 v8, 31, v6
	v_xor_b32_e32 v7, v7, v8
	v_xor_b32_e32 v6, v6, v8
	v_sub_co_u32_e32 v9, vcc, v7, v8
	v_cmp_gt_i64_e64 s[18:19], s[4:5], 0
	v_subb_co_u32_e32 v8, vcc, v6, v8, vcc
	s_and_b64 s[18:19], s[18:19], exec
	v_mov_b32_e32 v6, s25
	v_subrev_co_u32_e32 v7, vcc, s24, v2
	s_cselect_b32 s18, s5, 0
	s_cselect_b32 s19, s4, 0
	v_cmp_gt_i64_e64 s[4:5], s[0:1], 0
	v_subb_co_u32_e32 v6, vcc, v3, v6, vcc
	s_and_b64 s[4:5], s[4:5], exec
	v_ashrrev_i32_e32 v10, 31, v6
	s_cselect_b32 s20, s1, 0
	s_cselect_b32 s21, s0, 0
	v_cmp_gt_i64_e64 s[0:1], s[10:11], 0
	v_xor_b32_e32 v7, v7, v10
	s_and_b64 s[0:1], s[0:1], exec
	v_cmp_gt_i64_e64 s[4:5], s[24:25], 0
	v_xor_b32_e32 v6, v6, v10
	v_sub_co_u32_e32 v7, vcc, v7, v10
	s_cselect_b32 s1, s11, 0
	s_cselect_b32 s0, s10, 0
	s_and_b64 s[4:5], s[4:5], exec
	v_subb_co_u32_e32 v6, vcc, v6, v10, vcc
	s_cselect_b32 s5, s25, 0
	s_cselect_b32 s4, s24, 0
	v_mov_b32_e32 v10, s35
	v_subrev_co_u32_e32 v11, vcc, s34, v2
	s_not_b64 s[0:1], s[0:1]
	v_subb_co_u32_e32 v10, vcc, v3, v10, vcc
	s_not_b64 s[4:5], s[4:5]
	v_add_co_u32_e32 v11, vcc, 1, v11
	s_add_u32 s22, s34, s24
	v_addc_co_u32_e32 v10, vcc, 0, v10, vcc
	s_addc_u32 s23, s35, s25
	v_ashrrev_i32_e32 v12, 31, v10
	s_add_u32 s4, s22, s4
	v_xor_b32_e32 v11, v11, v12
	s_addc_u32 s5, s23, s5
	v_xor_b32_e32 v10, v10, v12
	v_sub_co_u32_e32 v11, vcc, v11, v12
	s_add_u32 s4, s4, s21
	v_subb_co_u32_e32 v10, vcc, v10, v12, vcc
	s_addc_u32 s5, s5, s20
	s_add_u32 s4, s4, s7
	v_add_co_u32_e32 v11, vcc, v2, v11
	s_addc_u32 s5, s5, s8
	v_addc_co_u32_e32 v10, vcc, v3, v10, vcc
	v_mov_b32_e32 v12, s5
	v_sub_co_u32_e32 v11, vcc, s4, v11
	v_subb_co_u32_e32 v10, vcc, v12, v10, vcc
	v_add_co_u32_e32 v7, vcc, v11, v7
	v_addc_co_u32_e32 v6, vcc, v10, v6, vcc
	v_mul_lo_u32 v10, v6, s16
	v_mul_lo_u32 v11, v7, s17
	v_mad_u64_u32 v[6:7], s[4:5], v7, s16, 0
	s_add_u32 s4, s31, s10
	s_addc_u32 s5, s33, s11
	s_add_u32 s0, s4, s0
	s_addc_u32 s1, s5, s1
	s_add_u32 s0, s0, s19
	v_add_co_u32_e32 v9, vcc, v0, v9
	v_add3_u32 v7, v7, v11, v10
	s_addc_u32 s1, s1, s18
	v_addc_co_u32_e32 v10, vcc, v1, v8, vcc
	v_mov_b32_e32 v11, s1
	v_sub_co_u32_e32 v8, vcc, s0, v9
	v_subb_co_u32_e32 v9, vcc, v11, v10, vcc
	v_mov_b32_e32 v10, s2
	s_mul_i32 s30, s30, s2
	v_mad_u64_u32 v[2:3], s[0:1], s9, v10, v[2:3]
	v_add_u32_e32 v3, s30, v3
	v_mul_lo_u32 v10, v3, s6
	v_mul_lo_u32 v11, v2, s3
	v_mad_u64_u32 v[2:3], s[0:1], v2, s6, 0
	v_lshlrev_b64 v[8:9], 1, v[8:9]
	v_add3_u32 v3, v3, v11, v10
	v_mov_b32_e32 v10, s13
	v_add_co_u32_e32 v8, vcc, s12, v8
	v_addc_co_u32_e32 v9, vcc, v10, v9, vcc
	v_lshlrev_b64 v[4:5], 1, v[4:5]
	v_add_co_u32_e32 v8, vcc, v8, v4
	v_addc_co_u32_e32 v9, vcc, v9, v5, vcc
	v_lshlrev_b64 v[2:3], 1, v[2:3]
	v_lshlrev_b64 v[4:5], 1, v[6:7]
	v_mov_b32_e32 v6, s15
	v_add_co_u32_e32 v2, vcc, s14, v2
	v_addc_co_u32_e32 v3, vcc, v6, v3, vcc
	v_lshlrev_b64 v[0:1], 1, v[0:1]
	v_add_co_u32_e32 v0, vcc, v2, v0
	v_addc_co_u32_e32 v1, vcc, v3, v1, vcc
	v_add_co_u32_e32 v4, vcc, v8, v4
	global_load_ushort v2, v[0:1], off
	v_addc_co_u32_e32 v1, vcc, v9, v5, vcc
	v_and_b32_e32 v0, -3, v4
	global_load_dword v3, v[0:1], off
	v_and_b32_e32 v4, 2, v4
	v_mov_b32_e32 v5, 0
	s_mov_b64 s[4:5], 0
	v_cmp_eq_u64_e32 vcc, 0, v[4:5]
	v_cmp_ne_u32_e64 s[0:1], 0, v4
	s_movk_i32 s6, 0x7fff
	s_mov_b32 s7, 0xffff0000
	v_mov_b32_e32 v5, 0x7fc0
	s_waitcnt vmcnt(1)
	v_lshlrev_b32_e32 v4, 16, v2
	s_branch .LBB22_6
.LBB22_5:                               ;   in Loop: Header=BB22_6 Depth=1
	s_or_b64 exec, exec, s[2:3]
	global_atomic_cmpswap v2, v[0:1], v[2:3], off glc
	s_waitcnt vmcnt(0)
	v_cmp_eq_u32_e64 s[2:3], v3, v2
	s_or_b64 s[4:5], s[2:3], s[4:5]
	v_mov_b32_e32 v3, v2
	s_andn2_b64 exec, exec, s[4:5]
	s_cbranch_execz .LBB22_10
.LBB22_6:                               ; =>This Inner Loop Header: Depth=1
	s_waitcnt vmcnt(0)
	v_lshrrev_b32_e32 v2, 16, v3
	v_cndmask_b32_e32 v2, v2, v3, vcc
	v_lshlrev_b32_e32 v2, 16, v2
	v_add_f32_e32 v2, v4, v2
	v_bfe_u32 v6, v2, 16, 1
	v_add3_u32 v6, v2, v6, s6
	v_lshrrev_b32_e32 v6, 16, v6
	v_cmp_o_f32_e64 s[2:3], v2, v2
	v_cndmask_b32_e64 v6, v5, v6, s[2:3]
	s_and_saveexec_b64 s[2:3], s[0:1]
	s_xor_b64 s[2:3], exec, s[2:3]
; %bb.7:                                ;   in Loop: Header=BB22_6 Depth=1
	v_and_b32_e32 v2, 0xffff, v3
	v_lshl_or_b32 v2, v6, 16, v2
                                        ; implicit-def: $vgpr6
; %bb.8:                                ;   in Loop: Header=BB22_6 Depth=1
	s_andn2_saveexec_b64 s[2:3], s[2:3]
	s_cbranch_execz .LBB22_5
; %bb.9:                                ;   in Loop: Header=BB22_6 Depth=1
	v_and_or_b32 v2, v3, s7, v6
	s_branch .LBB22_5
.LBB22_10:
	s_endpgm
.LBB22_11:
                                        ; implicit-def: $vgpr2_vgpr3
	s_branch .LBB22_3
	.section	.rodata,"a",@progbits
	.p2align	6, 0x0
	.amdhsa_kernel _ZN2at6native12_GLOBAL__N_136reflection_pad2d_backward_out_kernelIN3c108BFloat16EEEvPT_PKS5_lliiiiiii
		.amdhsa_group_segment_fixed_size 0
		.amdhsa_private_segment_fixed_size 0
		.amdhsa_kernarg_size 320
		.amdhsa_user_sgpr_count 6
		.amdhsa_user_sgpr_private_segment_buffer 1
		.amdhsa_user_sgpr_dispatch_ptr 0
		.amdhsa_user_sgpr_queue_ptr 0
		.amdhsa_user_sgpr_kernarg_segment_ptr 1
		.amdhsa_user_sgpr_dispatch_id 0
		.amdhsa_user_sgpr_flat_scratch_init 0
		.amdhsa_user_sgpr_kernarg_preload_length 0
		.amdhsa_user_sgpr_kernarg_preload_offset 0
		.amdhsa_user_sgpr_private_segment_size 0
		.amdhsa_uses_dynamic_stack 0
		.amdhsa_system_sgpr_private_segment_wavefront_offset 0
		.amdhsa_system_sgpr_workgroup_id_x 1
		.amdhsa_system_sgpr_workgroup_id_y 1
		.amdhsa_system_sgpr_workgroup_id_z 1
		.amdhsa_system_sgpr_workgroup_info 0
		.amdhsa_system_vgpr_workitem_id 0
		.amdhsa_next_free_vgpr 13
		.amdhsa_next_free_sgpr 36
		.amdhsa_accum_offset 16
		.amdhsa_reserve_vcc 1
		.amdhsa_reserve_flat_scratch 0
		.amdhsa_float_round_mode_32 0
		.amdhsa_float_round_mode_16_64 0
		.amdhsa_float_denorm_mode_32 3
		.amdhsa_float_denorm_mode_16_64 3
		.amdhsa_dx10_clamp 1
		.amdhsa_ieee_mode 1
		.amdhsa_fp16_overflow 0
		.amdhsa_tg_split 0
		.amdhsa_exception_fp_ieee_invalid_op 0
		.amdhsa_exception_fp_denorm_src 0
		.amdhsa_exception_fp_ieee_div_zero 0
		.amdhsa_exception_fp_ieee_overflow 0
		.amdhsa_exception_fp_ieee_underflow 0
		.amdhsa_exception_fp_ieee_inexact 0
		.amdhsa_exception_int_div_zero 0
	.end_amdhsa_kernel
	.section	.text._ZN2at6native12_GLOBAL__N_136reflection_pad2d_backward_out_kernelIN3c108BFloat16EEEvPT_PKS5_lliiiiiii,"axG",@progbits,_ZN2at6native12_GLOBAL__N_136reflection_pad2d_backward_out_kernelIN3c108BFloat16EEEvPT_PKS5_lliiiiiii,comdat
.Lfunc_end22:
	.size	_ZN2at6native12_GLOBAL__N_136reflection_pad2d_backward_out_kernelIN3c108BFloat16EEEvPT_PKS5_lliiiiiii, .Lfunc_end22-_ZN2at6native12_GLOBAL__N_136reflection_pad2d_backward_out_kernelIN3c108BFloat16EEEvPT_PKS5_lliiiiiii
                                        ; -- End function
	.section	.AMDGPU.csdata,"",@progbits
; Kernel info:
; codeLenInByte = 1768
; NumSgprs: 40
; NumVgprs: 13
; NumAgprs: 0
; TotalNumVgprs: 13
; ScratchSize: 0
; MemoryBound: 0
; FloatMode: 240
; IeeeMode: 1
; LDSByteSize: 0 bytes/workgroup (compile time only)
; SGPRBlocks: 4
; VGPRBlocks: 1
; NumSGPRsForWavesPerEU: 40
; NumVGPRsForWavesPerEU: 13
; AccumOffset: 16
; Occupancy: 8
; WaveLimiterHint : 0
; COMPUTE_PGM_RSRC2:SCRATCH_EN: 0
; COMPUTE_PGM_RSRC2:USER_SGPR: 6
; COMPUTE_PGM_RSRC2:TRAP_HANDLER: 0
; COMPUTE_PGM_RSRC2:TGID_X_EN: 1
; COMPUTE_PGM_RSRC2:TGID_Y_EN: 1
; COMPUTE_PGM_RSRC2:TGID_Z_EN: 1
; COMPUTE_PGM_RSRC2:TIDIG_COMP_CNT: 0
; COMPUTE_PGM_RSRC3_GFX90A:ACCUM_OFFSET: 3
; COMPUTE_PGM_RSRC3_GFX90A:TG_SPLIT: 0
	.section	.text._ZN2at6native12_GLOBAL__N_127reflection_pad1d_out_kernelIhEEvPKT_PS3_lll,"axG",@progbits,_ZN2at6native12_GLOBAL__N_127reflection_pad1d_out_kernelIhEEvPKT_PS3_lll,comdat
	.globl	_ZN2at6native12_GLOBAL__N_127reflection_pad1d_out_kernelIhEEvPKT_PS3_lll ; -- Begin function _ZN2at6native12_GLOBAL__N_127reflection_pad1d_out_kernelIhEEvPKT_PS3_lll
	.p2align	8
	.type	_ZN2at6native12_GLOBAL__N_127reflection_pad1d_out_kernelIhEEvPKT_PS3_lll,@function
_ZN2at6native12_GLOBAL__N_127reflection_pad1d_out_kernelIhEEvPKT_PS3_lll: ; @_ZN2at6native12_GLOBAL__N_127reflection_pad1d_out_kernelIhEEvPKT_PS3_lll
; %bb.0:
	s_load_dword s9, s[4:5], 0x34
	s_load_dwordx2 s[0:1], s[4:5], 0x20
	s_load_dwordx8 s[12:19], s[4:5], 0x0
	s_add_u32 s2, s4, 40
	s_addc_u32 s3, s5, 0
	s_waitcnt lgkmcnt(0)
	s_and_b32 s4, s9, 0xffff
	v_mov_b32_e32 v1, 0
	v_mov_b32_e32 v2, s6
	v_mad_u64_u32 v[0:1], s[4:5], s4, v2, v[0:1]
	s_add_u32 s4, s18, s16
	s_addc_u32 s5, s19, s17
	s_add_u32 s0, s4, s0
	s_addc_u32 s1, s5, s1
	v_cmp_gt_i64_e32 vcc, s[0:1], v[0:1]
	s_and_saveexec_b64 s[10:11], vcc
	s_cbranch_execz .LBB23_2
; %bb.1:
	s_load_dword s6, s[2:3], 0x4
	v_mov_b32_e32 v2, s19
	v_subrev_co_u32_e32 v3, vcc, s18, v0
	s_sub_u32 s2, 0, s18
	s_waitcnt lgkmcnt(0)
	s_mul_i32 s6, s6, s8
	v_subb_co_u32_e32 v2, vcc, v1, v2, vcc
	s_subb_u32 s3, 0, s19
	s_add_i32 s8, s6, s7
	v_ashrrev_i32_e32 v4, 31, v2
	s_mul_i32 s1, s1, s8
	s_mul_hi_u32 s6, s0, s8
	v_xor_b32_e32 v3, v3, v4
	v_cmp_gt_i64_e64 s[10:11], s[2:3], 0
	s_add_i32 s1, s6, s1
	v_xor_b32_e32 v2, v2, v4
	v_sub_co_u32_e32 v3, vcc, v3, v4
	s_and_b64 s[6:7], s[10:11], exec
	v_subb_co_u32_e32 v4, vcc, v2, v4, vcc
	s_cselect_b32 s6, s3, 0
	s_cselect_b32 s7, s2, 0
	v_cmp_gt_i64_e64 s[2:3], s[18:19], 0
	v_mov_b32_e32 v2, s5
	v_subrev_co_u32_e32 v5, vcc, s4, v0
	s_and_b64 s[2:3], s[2:3], exec
	v_subb_co_u32_e32 v2, vcc, v1, v2, vcc
	s_cselect_b32 s3, s19, 0
	s_cselect_b32 s2, s18, 0
	v_add_co_u32_e32 v5, vcc, 1, v5
	v_addc_co_u32_e32 v2, vcc, 0, v2, vcc
	s_not_b64 s[2:3], s[2:3]
	v_ashrrev_i32_e32 v6, 31, v2
	s_add_u32 s4, s4, s18
	v_xor_b32_e32 v5, v5, v6
	s_addc_u32 s5, s5, s19
	v_xor_b32_e32 v2, v2, v6
	v_sub_co_u32_e32 v5, vcc, v5, v6
	s_add_u32 s2, s4, s2
	v_subb_co_u32_e32 v2, vcc, v2, v6, vcc
	s_addc_u32 s3, s5, s3
	s_add_u32 s2, s2, s7
	v_add_co_u32_e32 v5, vcc, v0, v5
	s_addc_u32 s3, s3, s6
	v_addc_co_u32_e32 v2, vcc, v1, v2, vcc
	v_mov_b32_e32 v6, s3
	v_sub_co_u32_e32 v5, vcc, s2, v5
	v_subb_co_u32_e32 v2, vcc, v6, v2, vcc
	v_mov_b32_e32 v6, s13
	v_add_co_u32_e32 v5, vcc, s12, v5
	v_addc_co_u32_e32 v6, vcc, v6, v2, vcc
	v_add_co_u32_e32 v2, vcc, v5, v3
	v_addc_co_u32_e32 v3, vcc, v6, v4, vcc
	v_mov_b32_e32 v4, s16
	v_mad_u64_u32 v[2:3], s[2:3], s8, v4, v[2:3]
	s_mul_i32 s2, s8, s17
	v_add_u32_e32 v3, s2, v3
	global_load_ubyte v2, v[2:3], off
	s_mul_i32 s0, s0, s8
	s_add_u32 s0, s14, s0
	s_addc_u32 s1, s15, s1
	v_mov_b32_e32 v3, s1
	v_add_co_u32_e32 v0, vcc, s0, v0
	v_addc_co_u32_e32 v1, vcc, v3, v1, vcc
	s_waitcnt vmcnt(0)
	global_store_byte v[0:1], v2, off
.LBB23_2:
	s_endpgm
	.section	.rodata,"a",@progbits
	.p2align	6, 0x0
	.amdhsa_kernel _ZN2at6native12_GLOBAL__N_127reflection_pad1d_out_kernelIhEEvPKT_PS3_lll
		.amdhsa_group_segment_fixed_size 0
		.amdhsa_private_segment_fixed_size 0
		.amdhsa_kernarg_size 296
		.amdhsa_user_sgpr_count 6
		.amdhsa_user_sgpr_private_segment_buffer 1
		.amdhsa_user_sgpr_dispatch_ptr 0
		.amdhsa_user_sgpr_queue_ptr 0
		.amdhsa_user_sgpr_kernarg_segment_ptr 1
		.amdhsa_user_sgpr_dispatch_id 0
		.amdhsa_user_sgpr_flat_scratch_init 0
		.amdhsa_user_sgpr_kernarg_preload_length 0
		.amdhsa_user_sgpr_kernarg_preload_offset 0
		.amdhsa_user_sgpr_private_segment_size 0
		.amdhsa_uses_dynamic_stack 0
		.amdhsa_system_sgpr_private_segment_wavefront_offset 0
		.amdhsa_system_sgpr_workgroup_id_x 1
		.amdhsa_system_sgpr_workgroup_id_y 1
		.amdhsa_system_sgpr_workgroup_id_z 1
		.amdhsa_system_sgpr_workgroup_info 0
		.amdhsa_system_vgpr_workitem_id 0
		.amdhsa_next_free_vgpr 7
		.amdhsa_next_free_sgpr 20
		.amdhsa_accum_offset 8
		.amdhsa_reserve_vcc 1
		.amdhsa_reserve_flat_scratch 0
		.amdhsa_float_round_mode_32 0
		.amdhsa_float_round_mode_16_64 0
		.amdhsa_float_denorm_mode_32 3
		.amdhsa_float_denorm_mode_16_64 3
		.amdhsa_dx10_clamp 1
		.amdhsa_ieee_mode 1
		.amdhsa_fp16_overflow 0
		.amdhsa_tg_split 0
		.amdhsa_exception_fp_ieee_invalid_op 0
		.amdhsa_exception_fp_denorm_src 0
		.amdhsa_exception_fp_ieee_div_zero 0
		.amdhsa_exception_fp_ieee_overflow 0
		.amdhsa_exception_fp_ieee_underflow 0
		.amdhsa_exception_fp_ieee_inexact 0
		.amdhsa_exception_int_div_zero 0
	.end_amdhsa_kernel
	.section	.text._ZN2at6native12_GLOBAL__N_127reflection_pad1d_out_kernelIhEEvPKT_PS3_lll,"axG",@progbits,_ZN2at6native12_GLOBAL__N_127reflection_pad1d_out_kernelIhEEvPKT_PS3_lll,comdat
.Lfunc_end23:
	.size	_ZN2at6native12_GLOBAL__N_127reflection_pad1d_out_kernelIhEEvPKT_PS3_lll, .Lfunc_end23-_ZN2at6native12_GLOBAL__N_127reflection_pad1d_out_kernelIhEEvPKT_PS3_lll
                                        ; -- End function
	.section	.AMDGPU.csdata,"",@progbits
; Kernel info:
; codeLenInByte = 376
; NumSgprs: 24
; NumVgprs: 7
; NumAgprs: 0
; TotalNumVgprs: 7
; ScratchSize: 0
; MemoryBound: 0
; FloatMode: 240
; IeeeMode: 1
; LDSByteSize: 0 bytes/workgroup (compile time only)
; SGPRBlocks: 2
; VGPRBlocks: 0
; NumSGPRsForWavesPerEU: 24
; NumVGPRsForWavesPerEU: 7
; AccumOffset: 8
; Occupancy: 8
; WaveLimiterHint : 0
; COMPUTE_PGM_RSRC2:SCRATCH_EN: 0
; COMPUTE_PGM_RSRC2:USER_SGPR: 6
; COMPUTE_PGM_RSRC2:TRAP_HANDLER: 0
; COMPUTE_PGM_RSRC2:TGID_X_EN: 1
; COMPUTE_PGM_RSRC2:TGID_Y_EN: 1
; COMPUTE_PGM_RSRC2:TGID_Z_EN: 1
; COMPUTE_PGM_RSRC2:TIDIG_COMP_CNT: 0
; COMPUTE_PGM_RSRC3_GFX90A:ACCUM_OFFSET: 1
; COMPUTE_PGM_RSRC3_GFX90A:TG_SPLIT: 0
	.section	.text._ZN2at6native12_GLOBAL__N_121reflection_pad1d_flatIhEEvPKT_PS3_lllll,"axG",@progbits,_ZN2at6native12_GLOBAL__N_121reflection_pad1d_flatIhEEvPKT_PS3_lllll,comdat
	.globl	_ZN2at6native12_GLOBAL__N_121reflection_pad1d_flatIhEEvPKT_PS3_lllll ; -- Begin function _ZN2at6native12_GLOBAL__N_121reflection_pad1d_flatIhEEvPKT_PS3_lllll
	.p2align	8
	.type	_ZN2at6native12_GLOBAL__N_121reflection_pad1d_flatIhEEvPKT_PS3_lllll,@function
_ZN2at6native12_GLOBAL__N_121reflection_pad1d_flatIhEEvPKT_PS3_lllll: ; @_ZN2at6native12_GLOBAL__N_121reflection_pad1d_flatIhEEvPKT_PS3_lllll
; %bb.0:
	s_load_dword s2, s[4:5], 0x44
	s_load_dwordx4 s[8:11], s[4:5], 0x28
	s_add_u32 s0, s4, 56
	s_addc_u32 s1, s5, 0
	v_mov_b32_e32 v1, 0
	s_waitcnt lgkmcnt(0)
	s_and_b32 s7, s2, 0xffff
	s_mul_i32 s2, s10, s9
	s_mul_hi_u32 s12, s10, s8
	s_add_i32 s2, s12, s2
	s_mul_i32 s11, s11, s8
	v_mov_b32_e32 v2, s6
	s_add_i32 s11, s2, s11
	s_mul_i32 s10, s10, s8
	v_mad_u64_u32 v[2:3], s[12:13], s7, v2, v[0:1]
	s_mov_b32 s3, 0
	v_cmp_gt_i64_e32 vcc, s[10:11], v[2:3]
	s_and_saveexec_b64 s[12:13], vcc
	s_cbranch_execz .LBB24_64
; %bb.1:
	s_load_dword s2, s[0:1], 0x0
	v_mov_b32_e32 v4, s7
	s_waitcnt lgkmcnt(0)
	s_add_u32 s33, s6, s2
	s_addc_u32 s34, 0, 0
	s_mul_i32 s34, s34, s7
	v_mad_u64_u32 v[6:7], s[0:1], s33, v4, v[0:1]
	v_add_u32_e32 v7, s34, v7
	v_mov_b32_e32 v4, s11
	v_cmp_gt_i64_e32 vcc, s[10:11], v[6:7]
	v_cndmask_b32_e32 v8, v7, v4, vcc
	v_mov_b32_e32 v4, s10
	v_cndmask_b32_e32 v5, v6, v4, vcc
	v_cndmask_b32_e64 v4, 0, 1, vcc
	v_add_co_u32_e32 v6, vcc, v6, v4
	v_addc_co_u32_e32 v7, vcc, 0, v7, vcc
	v_sub_co_u32_e32 v5, vcc, v5, v6
	s_mul_hi_u32 s21, s7, s2
	v_subb_co_u32_e32 v8, vcc, v8, v7, vcc
	v_or_b32_e32 v7, s21, v8
	v_mov_b32_e32 v6, v1
	s_mul_i32 s20, s7, s2
	v_cmp_ne_u64_e32 vcc, 0, v[6:7]
                                        ; implicit-def: $vgpr6_vgpr7
	s_and_saveexec_b64 s[0:1], vcc
	s_xor_b64 s[12:13], exec, s[0:1]
	s_cbranch_execz .LBB24_3
; %bb.2:
	v_cvt_f32_u32_e32 v1, s20
	v_cvt_f32_u32_e32 v6, s21
	s_sub_u32 s0, 0, s20
	s_subb_u32 s1, 0, s21
	v_madmk_f32 v1, v6, 0x4f800000, v1
	v_rcp_f32_e32 v1, v1
	v_mul_f32_e32 v1, 0x5f7ffffc, v1
	v_mul_f32_e32 v6, 0x2f800000, v1
	v_trunc_f32_e32 v6, v6
	v_madmk_f32 v1, v6, 0xcf800000, v1
	v_cvt_u32_f32_e32 v6, v6
	v_cvt_u32_f32_e32 v1, v1
	v_mul_lo_u32 v7, s0, v6
	v_mul_hi_u32 v10, s0, v1
	v_mul_lo_u32 v9, s1, v1
	v_add_u32_e32 v7, v10, v7
	v_mul_lo_u32 v11, s0, v1
	v_add_u32_e32 v7, v7, v9
	v_mul_hi_u32 v10, v1, v11
	v_mul_lo_u32 v12, v1, v7
	v_mul_hi_u32 v9, v1, v7
	v_add_co_u32_e32 v10, vcc, v10, v12
	v_addc_co_u32_e32 v9, vcc, 0, v9, vcc
	v_mul_hi_u32 v13, v6, v11
	v_mul_lo_u32 v11, v6, v11
	v_add_co_u32_e32 v10, vcc, v10, v11
	v_mul_hi_u32 v12, v6, v7
	v_addc_co_u32_e32 v9, vcc, v9, v13, vcc
	v_addc_co_u32_e32 v10, vcc, 0, v12, vcc
	v_mul_lo_u32 v7, v6, v7
	v_add_co_u32_e32 v7, vcc, v9, v7
	v_addc_co_u32_e32 v9, vcc, 0, v10, vcc
	v_add_co_u32_e32 v1, vcc, v1, v7
	v_addc_co_u32_e32 v6, vcc, v6, v9, vcc
	v_mul_lo_u32 v7, s0, v6
	v_mul_hi_u32 v9, s0, v1
	v_add_u32_e32 v7, v9, v7
	v_mul_lo_u32 v9, s1, v1
	v_add_u32_e32 v7, v7, v9
	v_mul_lo_u32 v10, s0, v1
	v_mul_hi_u32 v11, v6, v10
	v_mul_lo_u32 v12, v6, v10
	v_mul_lo_u32 v14, v1, v7
	v_mul_hi_u32 v10, v1, v10
	v_mul_hi_u32 v13, v1, v7
	v_add_co_u32_e32 v10, vcc, v10, v14
	v_addc_co_u32_e32 v13, vcc, 0, v13, vcc
	v_add_co_u32_e32 v10, vcc, v10, v12
	v_mul_hi_u32 v9, v6, v7
	v_addc_co_u32_e32 v10, vcc, v13, v11, vcc
	v_addc_co_u32_e32 v9, vcc, 0, v9, vcc
	v_mul_lo_u32 v7, v6, v7
	v_add_co_u32_e32 v7, vcc, v10, v7
	v_addc_co_u32_e32 v9, vcc, 0, v9, vcc
	v_add_co_u32_e32 v1, vcc, v1, v7
	v_addc_co_u32_e32 v9, vcc, v6, v9, vcc
	v_mad_u64_u32 v[6:7], s[0:1], v5, v9, 0
	v_mul_hi_u32 v10, v5, v1
	v_add_co_u32_e32 v12, vcc, v10, v6
	v_addc_co_u32_e32 v13, vcc, 0, v7, vcc
	v_mad_u64_u32 v[10:11], s[0:1], v8, v1, 0
	v_add_co_u32_e32 v1, vcc, v12, v10
	v_mad_u64_u32 v[6:7], s[0:1], v8, v9, 0
	v_addc_co_u32_e32 v1, vcc, v13, v11, vcc
	v_addc_co_u32_e32 v7, vcc, 0, v7, vcc
	v_add_co_u32_e32 v1, vcc, v1, v6
	v_addc_co_u32_e32 v9, vcc, 0, v7, vcc
	v_mul_lo_u32 v10, s21, v1
	v_mul_lo_u32 v11, s20, v9
	v_mad_u64_u32 v[6:7], s[0:1], s20, v1, 0
	v_add3_u32 v7, v7, v11, v10
	v_sub_u32_e32 v10, v8, v7
	v_mov_b32_e32 v11, s21
	v_sub_co_u32_e32 v5, vcc, v5, v6
	v_subb_co_u32_e64 v6, s[0:1], v10, v11, vcc
	v_subrev_co_u32_e64 v10, s[0:1], s20, v5
	v_subbrev_co_u32_e64 v6, s[0:1], 0, v6, s[0:1]
	v_cmp_le_u32_e64 s[0:1], s21, v6
	v_cndmask_b32_e64 v11, 0, -1, s[0:1]
	v_cmp_le_u32_e64 s[0:1], s20, v10
	v_cndmask_b32_e64 v10, 0, -1, s[0:1]
	v_cmp_eq_u32_e64 s[0:1], s21, v6
	v_cndmask_b32_e64 v6, v11, v10, s[0:1]
	v_add_co_u32_e64 v10, s[0:1], 2, v1
	v_subb_co_u32_e32 v7, vcc, v8, v7, vcc
	v_addc_co_u32_e64 v11, s[0:1], 0, v9, s[0:1]
	v_cmp_le_u32_e32 vcc, s21, v7
	v_add_co_u32_e64 v12, s[0:1], 1, v1
	v_cndmask_b32_e64 v8, 0, -1, vcc
	v_cmp_le_u32_e32 vcc, s20, v5
	v_addc_co_u32_e64 v13, s[0:1], 0, v9, s[0:1]
	v_cndmask_b32_e64 v5, 0, -1, vcc
	v_cmp_eq_u32_e32 vcc, s21, v7
	v_cmp_ne_u32_e64 s[0:1], 0, v6
	v_cndmask_b32_e32 v5, v8, v5, vcc
	v_cndmask_b32_e64 v6, v13, v11, s[0:1]
	v_cmp_ne_u32_e32 vcc, 0, v5
	v_cndmask_b32_e64 v5, v12, v10, s[0:1]
	v_cndmask_b32_e32 v7, v9, v6, vcc
	v_cndmask_b32_e32 v6, v1, v5, vcc
                                        ; implicit-def: $vgpr5
.LBB24_3:
	s_or_saveexec_b64 s[0:1], s[12:13]
	s_load_dwordx4 s[12:15], s[4:5], 0x0
	s_xor_b64 exec, exec, s[0:1]
	s_cbranch_execz .LBB24_5
; %bb.4:
	v_cvt_f32_u32_e32 v1, s20
	s_sub_i32 s16, 0, s20
	v_rcp_iflag_f32_e32 v1, v1
	v_mul_f32_e32 v1, 0x4f7ffffe, v1
	v_cvt_u32_f32_e32 v1, v1
	v_mul_lo_u32 v6, s16, v1
	v_mul_hi_u32 v6, v1, v6
	v_add_u32_e32 v1, v1, v6
	v_mul_hi_u32 v1, v5, v1
	v_mul_lo_u32 v6, v1, s20
	v_sub_u32_e32 v5, v5, v6
	v_add_u32_e32 v7, 1, v1
	v_subrev_u32_e32 v6, s20, v5
	v_cmp_le_u32_e32 vcc, s20, v5
	v_cndmask_b32_e32 v5, v5, v6, vcc
	v_cndmask_b32_e32 v1, v1, v7, vcc
	v_add_u32_e32 v6, 1, v1
	v_cmp_le_u32_e32 vcc, s20, v5
	v_cndmask_b32_e32 v6, v1, v6, vcc
	v_mov_b32_e32 v7, 0
.LBB24_5:
	s_or_b64 exec, exec, s[0:1]
	s_load_dwordx4 s[16:19], s[4:5], 0x10
	v_add_co_u32_e32 v1, vcc, v6, v4
	v_addc_co_u32_e32 v4, vcc, 0, v7, vcc
	s_waitcnt lgkmcnt(0)
	s_lshl_b64 s[4:5], s[16:17], 1
	s_add_u32 s22, s4, -2
	v_add_co_u32_e32 v20, vcc, 1, v1
	s_addc_u32 s23, s5, -1
	v_addc_co_u32_e32 v21, vcc, 0, v4, vcc
	s_mov_b64 s[0:1], 0
	v_cmp_lt_i64_e64 s[28:29], s[22:23], 1
	v_cmp_gt_i64_e64 s[24:25], s[22:23], 0
	v_cmp_lt_u64_e32 vcc, 3, v[20:21]
                                        ; kill: def $vgpr4_vgpr5 killed $sgpr0_sgpr1 killed $exec
                                        ; implicit-def: $sgpr30_sgpr31
	s_and_saveexec_b64 s[4:5], vcc
	s_xor_b64 s[26:27], exec, s[4:5]
	s_cbranch_execnz .LBB24_8
; %bb.6:
	s_or_saveexec_b64 s[2:3], s[26:27]
	v_pk_mov_b32 v[0:1], s[30:31], s[30:31] op_sel:[0,1]
	s_xor_b64 exec, exec, s[2:3]
	s_cbranch_execnz .LBB24_51
.LBB24_7:
	s_or_b64 exec, exec, s[2:3]
	s_and_b64 exec, exec, s[0:1]
	s_cbranch_execnz .LBB24_52
	s_branch .LBB24_64
.LBB24_8:
	s_mul_hi_u32 s0, s33, s7
	s_add_i32 s48, s0, s34
	s_lshl_b64 s[34:35], s[20:21], 2
	s_xor_b64 s[46:47], s[28:29], -1
	v_mad_u64_u32 v[8:9], s[0:1], s20, 3, v[2:3]
	s_sub_u32 s30, 0, s8
	s_mul_i32 s5, s7, s6
	v_mov_b32_e32 v10, v9
	s_subb_u32 s31, 0, s9
	s_mul_hi_u32 s4, s7, s6
	v_mad_u64_u32 v[6:7], s[0:1], s20, 2, v[2:3]
	v_mad_u64_u32 v[4:5], s[0:1], s20, 1, v[2:3]
                                        ; kill: def $vgpr1 killed $sgpr0 killed $exec
	v_mad_u64_u32 v[10:11], s[0:1], s21, 3, v[10:11]
	s_sub_u32 s61, s5, s18
	s_subb_u32 s62, s4, s19
	s_mul_i32 s1, s2, 3
	s_mul_hi_u32 s0, s2, 3
	s_add_u32 s1, s1, s6
	s_addc_u32 s0, s0, 0
	s_mul_i32 s0, s0, s7
	s_mul_hi_u32 s63, s1, s7
	s_add_i32 s74, s63, s0
	s_mul_i32 s73, s1, s7
	s_add_u32 s63, s14, s73
	s_addc_u32 s64, s15, s74
	s_lshl_b64 s[0:1], s[2:3], 1
	s_add_u32 s0, s0, s6
	s_addc_u32 s1, s1, 0
	s_mul_i32 s1, s1, s7
	s_mul_hi_u32 s2, s0, s7
	s_add_i32 s2, s2, s1
	s_mul_i32 s0, s0, s7
	s_add_u32 s65, s14, s0
	s_mul_i32 s49, s33, s7
	s_addc_u32 s66, s15, s2
	s_add_u32 s67, s14, s49
	s_addc_u32 s68, s15, s48
	s_add_u32 s69, s14, s5
	s_addc_u32 s70, s15, s4
	s_sub_u32 s71, s0, s18
	s_subb_u32 s72, s2, s19
	s_sub_u32 s73, s73, s18
	v_lshl_add_u32 v7, s21, 1, v7
	v_add_u32_e32 v5, s21, v5
	v_mov_b32_e32 v9, v10
	s_subb_u32 s74, s74, s19
	v_and_b32_e32 v22, -4, v20
	v_mov_b32_e32 v23, v21
	s_sub_u32 s75, s49, s18
	v_pk_mov_b32 v[10:11], v[8:9], v[8:9] op_sel:[0,1]
	s_mov_b32 s33, s34
	s_mov_b32 s50, s35
	;; [unrolled: 1-line block ×20, first 2 shown]
	s_mov_b64 s[44:45], 0
	s_subb_u32 s76, s48, s19
	v_mov_b32_e32 v24, 0
	v_pk_mov_b32 v[26:27], v[22:23], v[22:23] op_sel:[0,1]
	v_pk_mov_b32 v[8:9], v[6:7], v[6:7] op_sel:[0,1]
	v_pk_mov_b32 v[6:7], v[4:5], v[4:5] op_sel:[0,1]
	v_pk_mov_b32 v[4:5], v[2:3], v[2:3] op_sel:[0,1]
	s_branch .LBB24_11
.LBB24_9:                               ;   in Loop: Header=BB24_11 Depth=1
	s_or_b64 exec, exec, s[0:1]
.LBB24_10:                              ;   in Loop: Header=BB24_11 Depth=1
	v_ashrrev_i32_e32 v40, 31, v13
	v_and_b32_e32 v41, s23, v40
	v_and_b32_e32 v40, s22, v40
	v_ashrrev_i32_e32 v38, 31, v15
	v_add_co_u32_e32 v12, vcc, v40, v12
	v_and_b32_e32 v39, s56, v38
	v_and_b32_e32 v38, s55, v38
	v_addc_co_u32_e32 v13, vcc, v41, v13, vcc
	v_ashrrev_i32_e32 v36, 31, v17
	v_add_co_u32_e32 v14, vcc, v38, v14
	v_and_b32_e32 v37, s58, v36
	v_and_b32_e32 v36, s57, v36
	v_addc_co_u32_e32 v15, vcc, v39, v15, vcc
	;; [unrolled: 5-line block ×3, first 2 shown]
	v_add_co_u32_e32 v18, vcc, v1, v18
	v_addc_co_u32_e32 v19, vcc, v25, v19, vcc
	v_mov_b32_e32 v1, s60
	v_sub_co_u32_e32 v25, vcc, s59, v18
	v_subb_co_u32_e32 v1, vcc, v1, v19, vcc
	v_mov_b32_e32 v36, s58
	v_sub_co_u32_e32 v37, vcc, s57, v16
	v_subb_co_u32_e32 v36, vcc, v36, v17, vcc
	v_mov_b32_e32 v38, s56
	v_sub_co_u32_e32 v39, vcc, s55, v14
	v_subb_co_u32_e32 v38, vcc, v38, v15, vcc
	v_mov_b32_e32 v40, s23
	v_sub_co_u32_e32 v41, vcc, s22, v12
	v_subb_co_u32_e32 v40, vcc, v40, v13, vcc
	v_cmp_gt_i64_e32 vcc, s[36:37], v[12:13]
	v_cndmask_b32_e32 v12, v41, v12, vcc
	v_cndmask_b32_e32 v13, v40, v13, vcc
	v_cmp_gt_i64_e32 vcc, s[38:39], v[14:15]
	v_cndmask_b32_e32 v14, v39, v14, vcc
	v_cndmask_b32_e32 v15, v38, v15, vcc
	;; [unrolled: 3-line block ×3, first 2 shown]
	v_cndmask_b32_e64 v40, v13, 0, s[28:29]
	v_cndmask_b32_e64 v41, v12, 0, s[28:29]
	v_pk_mov_b32 v[12:13], s[12:13], s[12:13] op_sel:[0,1]
	v_cmp_gt_i64_e32 vcc, s[42:43], v[18:19]
	v_cndmask_b32_e64 v36, v17, 0, s[28:29]
	v_cndmask_b32_e64 v37, v16, 0, s[28:29]
	;; [unrolled: 1-line block ×4, first 2 shown]
	v_mad_u64_u32 v[14:15], s[0:1], v28, s36, v[12:13]
	v_mul_lo_u32 v16, v28, s37
	v_mul_lo_u32 v17, v29, s36
	v_cndmask_b32_e32 v18, v25, v18, vcc
	v_cndmask_b32_e32 v1, v1, v19, vcc
	v_add3_u32 v15, v17, v15, v16
	v_add_co_u32_e32 v14, vcc, v14, v41
	v_cndmask_b32_e64 v25, v18, 0, s[28:29]
	v_mad_u64_u32 v[16:17], s[0:1], v30, s38, v[12:13]
	v_mul_lo_u32 v18, v30, s39
	v_mul_lo_u32 v19, v31, s38
	v_addc_co_u32_e32 v15, vcc, v15, v40, vcc
	v_add3_u32 v17, v19, v17, v18
	v_add_co_u32_e32 v16, vcc, v16, v39
	v_mad_u64_u32 v[18:19], s[0:1], v32, s40, v[12:13]
	v_mul_lo_u32 v28, v32, s41
	v_mul_lo_u32 v29, v33, s40
	v_addc_co_u32_e32 v17, vcc, v17, v38, vcc
	v_add3_u32 v19, v29, v19, v28
	v_add_co_u32_e32 v18, vcc, v18, v37
	v_mad_u64_u32 v[12:13], s[0:1], v34, s42, v[12:13]
	v_mul_lo_u32 v28, v34, s43
	v_mul_lo_u32 v29, v35, s42
	v_addc_co_u32_e32 v19, vcc, v19, v36, vcc
	v_cndmask_b32_e64 v1, v1, 0, s[28:29]
	v_add3_u32 v13, v29, v13, v28
	v_add_co_u32_e32 v12, vcc, v12, v25
	v_addc_co_u32_e32 v13, vcc, v13, v1, vcc
	global_load_ubyte v1, v[14:15], off
	global_load_ubyte v25, v[16:17], off
	global_load_ubyte v28, v[18:19], off
	global_load_ubyte v29, v[12:13], off
	v_mov_b32_e32 v13, s70
	v_add_co_u32_e32 v12, vcc, s69, v0
	v_addc_co_u32_e32 v13, vcc, 0, v13, vcc
	v_mov_b32_e32 v15, s68
	v_add_co_u32_e32 v14, vcc, s67, v0
	v_addc_co_u32_e32 v15, vcc, 0, v15, vcc
	v_mov_b32_e32 v17, s66
	v_add_co_u32_e32 v16, vcc, s65, v0
	s_add_u32 s61, s61, s34
	v_addc_co_u32_e32 v17, vcc, 0, v17, vcc
	s_addc_u32 s62, s62, s35
	v_add_co_u32_e32 v18, vcc, s63, v0
	s_add_u32 s63, s63, s34
	v_mov_b32_e32 v19, s64
	s_addc_u32 s64, s64, s35
	s_add_u32 s65, s65, s34
	s_addc_u32 s66, s66, s35
	v_addc_co_u32_e32 v19, vcc, 0, v19, vcc
	s_add_u32 s67, s67, s34
	s_waitcnt vmcnt(3)
	global_store_byte v[12:13], v1, off
	s_waitcnt vmcnt(3)
	global_store_byte v[14:15], v25, off
	s_waitcnt vmcnt(3)
	global_store_byte v[16:17], v28, off
	s_waitcnt vmcnt(3)
	global_store_byte v[18:19], v29, off
	v_mov_b32_e32 v1, s54
	v_add_co_u32_e32 v10, vcc, s53, v10
	s_addc_u32 s68, s68, s35
	v_addc_co_u32_e32 v11, vcc, v11, v1, vcc
	s_add_u32 s69, s69, s34
	v_mov_b32_e32 v1, s52
	v_add_co_u32_e32 v8, vcc, s51, v8
	s_addc_u32 s70, s70, s35
	v_addc_co_u32_e32 v9, vcc, v9, v1, vcc
	s_add_u32 s71, s71, s34
	;; [unrolled: 5-line block ×3, first 2 shown]
	v_add_co_u32_e32 v26, vcc, -4, v26
	s_addc_u32 s74, s74, s35
	v_addc_co_u32_e32 v27, vcc, -1, v27, vcc
	s_add_u32 s75, s75, s34
	s_addc_u32 s76, s76, s35
	v_cmp_eq_u64_e32 vcc, 0, v[26:27]
	v_mov_b32_e32 v1, s35
	s_or_b64 s[44:45], vcc, s[44:45]
	v_add_co_u32_e32 v4, vcc, s34, v4
	v_addc_co_u32_e32 v5, vcc, v5, v1, vcc
	s_andn2_b64 exec, exec, s[44:45]
	s_cbranch_execz .LBB24_50
.LBB24_11:                              ; =>This Inner Loop Header: Depth=1
	v_or_b32_e32 v25, s9, v5
	v_cmp_ne_u64_e32 vcc, 0, v[24:25]
                                        ; implicit-def: $vgpr28_vgpr29
	s_and_saveexec_b64 s[0:1], vcc
	s_xor_b64 s[2:3], exec, s[0:1]
	s_cbranch_execz .LBB24_13
; %bb.12:                               ;   in Loop: Header=BB24_11 Depth=1
	s_ashr_i32 s4, s9, 31
	s_add_u32 s0, s8, s4
	s_mov_b32 s5, s4
	s_addc_u32 s1, s9, s4
	s_xor_b64 s[6:7], s[0:1], s[4:5]
	v_cvt_f32_u32_e32 v1, s6
	v_cvt_f32_u32_e32 v12, s7
	s_sub_u32 s0, 0, s6
	s_subb_u32 s1, 0, s7
	v_mac_f32_e32 v1, 0x4f800000, v12
	v_rcp_f32_e32 v1, v1
	v_mul_f32_e32 v1, 0x5f7ffffc, v1
	v_mul_f32_e32 v12, 0x2f800000, v1
	v_trunc_f32_e32 v12, v12
	v_mac_f32_e32 v1, 0xcf800000, v12
	v_cvt_u32_f32_e32 v12, v12
	v_cvt_u32_f32_e32 v1, v1
	v_mul_lo_u32 v13, s0, v12
	v_mul_hi_u32 v15, s0, v1
	v_mul_lo_u32 v14, s1, v1
	v_add_u32_e32 v13, v15, v13
	v_mul_lo_u32 v16, s0, v1
	v_add_u32_e32 v13, v13, v14
	v_mul_lo_u32 v15, v1, v13
	v_mul_hi_u32 v17, v1, v16
	v_mul_hi_u32 v14, v1, v13
	v_add_co_u32_e32 v15, vcc, v17, v15
	v_addc_co_u32_e32 v14, vcc, 0, v14, vcc
	v_mul_hi_u32 v18, v12, v16
	v_mul_lo_u32 v16, v12, v16
	v_add_co_u32_e32 v15, vcc, v15, v16
	v_mul_hi_u32 v17, v12, v13
	v_addc_co_u32_e32 v14, vcc, v14, v18, vcc
	v_addc_co_u32_e32 v15, vcc, 0, v17, vcc
	v_mul_lo_u32 v13, v12, v13
	v_add_co_u32_e32 v13, vcc, v14, v13
	v_addc_co_u32_e32 v14, vcc, 0, v15, vcc
	v_add_co_u32_e32 v1, vcc, v1, v13
	v_addc_co_u32_e32 v12, vcc, v12, v14, vcc
	v_mul_lo_u32 v13, s0, v12
	v_mul_hi_u32 v14, s0, v1
	v_add_u32_e32 v13, v14, v13
	v_mul_lo_u32 v14, s1, v1
	v_add_u32_e32 v13, v13, v14
	v_mul_lo_u32 v15, s0, v1
	v_mul_hi_u32 v16, v12, v15
	v_mul_lo_u32 v17, v12, v15
	v_mul_lo_u32 v19, v1, v13
	v_mul_hi_u32 v15, v1, v15
	v_mul_hi_u32 v18, v1, v13
	v_add_co_u32_e32 v15, vcc, v15, v19
	v_addc_co_u32_e32 v18, vcc, 0, v18, vcc
	v_add_co_u32_e32 v15, vcc, v15, v17
	v_mul_hi_u32 v14, v12, v13
	v_addc_co_u32_e32 v15, vcc, v18, v16, vcc
	v_addc_co_u32_e32 v14, vcc, 0, v14, vcc
	v_mul_lo_u32 v13, v12, v13
	v_add_co_u32_e32 v13, vcc, v15, v13
	v_addc_co_u32_e32 v14, vcc, 0, v14, vcc
	v_add_co_u32_e32 v1, vcc, v1, v13
	v_addc_co_u32_e32 v14, vcc, v12, v14, vcc
	v_ashrrev_i32_e32 v16, 31, v5
	v_add_co_u32_e32 v12, vcc, v4, v16
	v_addc_co_u32_e32 v13, vcc, v5, v16, vcc
	v_xor_b32_e32 v18, v12, v16
	v_xor_b32_e32 v17, v13, v16
	v_mad_u64_u32 v[12:13], s[0:1], v18, v14, 0
	v_mul_hi_u32 v15, v18, v1
	v_add_co_u32_e32 v19, vcc, v15, v12
	v_addc_co_u32_e32 v25, vcc, 0, v13, vcc
	v_mad_u64_u32 v[12:13], s[0:1], v17, v14, 0
	v_mad_u64_u32 v[14:15], s[0:1], v17, v1, 0
	v_add_co_u32_e32 v1, vcc, v19, v14
	v_addc_co_u32_e32 v1, vcc, v25, v15, vcc
	v_addc_co_u32_e32 v13, vcc, 0, v13, vcc
	v_add_co_u32_e32 v1, vcc, v1, v12
	v_addc_co_u32_e32 v14, vcc, 0, v13, vcc
	v_mul_lo_u32 v15, s7, v1
	v_mul_lo_u32 v19, s6, v14
	v_mad_u64_u32 v[12:13], s[0:1], s6, v1, 0
	v_add3_u32 v13, v13, v19, v15
	v_sub_u32_e32 v15, v17, v13
	v_mov_b32_e32 v19, s7
	v_sub_co_u32_e32 v12, vcc, v18, v12
	v_subb_co_u32_e64 v15, s[0:1], v15, v19, vcc
	v_subrev_co_u32_e64 v18, s[0:1], s6, v12
	v_subbrev_co_u32_e64 v15, s[0:1], 0, v15, s[0:1]
	v_cmp_le_u32_e64 s[0:1], s7, v15
	v_cndmask_b32_e64 v19, 0, -1, s[0:1]
	v_cmp_le_u32_e64 s[0:1], s6, v18
	v_cndmask_b32_e64 v18, 0, -1, s[0:1]
	v_cmp_eq_u32_e64 s[0:1], s7, v15
	v_cndmask_b32_e64 v15, v19, v18, s[0:1]
	v_add_co_u32_e64 v18, s[0:1], 2, v1
	v_subb_co_u32_e32 v13, vcc, v17, v13, vcc
	v_addc_co_u32_e64 v19, s[0:1], 0, v14, s[0:1]
	v_cmp_le_u32_e32 vcc, s7, v13
	v_add_co_u32_e64 v25, s[0:1], 1, v1
	v_cndmask_b32_e64 v17, 0, -1, vcc
	v_cmp_le_u32_e32 vcc, s6, v12
	v_addc_co_u32_e64 v28, s[0:1], 0, v14, s[0:1]
	v_cndmask_b32_e64 v12, 0, -1, vcc
	v_cmp_eq_u32_e32 vcc, s7, v13
	v_cmp_ne_u32_e64 s[0:1], 0, v15
	v_cndmask_b32_e32 v12, v17, v12, vcc
	v_cmp_ne_u32_e32 vcc, 0, v12
	v_cndmask_b32_e64 v13, v25, v18, s[0:1]
	v_cndmask_b32_e64 v15, v28, v19, s[0:1]
	v_cndmask_b32_e32 v1, v1, v13, vcc
	v_xor_b32_e32 v13, s4, v16
	v_cndmask_b32_e32 v12, v14, v15, vcc
	v_xor_b32_e32 v1, v1, v13
	v_xor_b32_e32 v12, v12, v13
	v_sub_co_u32_e32 v28, vcc, v1, v13
	v_subb_co_u32_e32 v29, vcc, v12, v13, vcc
.LBB24_13:                              ;   in Loop: Header=BB24_11 Depth=1
	s_or_saveexec_b64 s[0:1], s[2:3]
	v_cvt_f32_u32_e32 v1, s8
	v_rcp_iflag_f32_e32 v1, v1
	s_xor_b64 exec, exec, s[0:1]
	s_cbranch_execz .LBB24_15
; %bb.14:                               ;   in Loop: Header=BB24_11 Depth=1
	v_mul_f32_e32 v12, 0x4f7ffffe, v1
	v_cvt_u32_f32_e32 v12, v12
	s_sub_i32 s2, 0, s8
	v_mov_b32_e32 v29, v24
	v_mul_lo_u32 v13, s2, v12
	v_mul_hi_u32 v13, v12, v13
	v_add_u32_e32 v12, v12, v13
	v_mul_hi_u32 v12, v4, v12
	v_mul_lo_u32 v13, v12, s8
	v_sub_u32_e32 v13, v4, v13
	v_add_u32_e32 v14, 1, v12
	v_subrev_u32_e32 v15, s8, v13
	v_cmp_le_u32_e32 vcc, s8, v13
	v_cndmask_b32_e32 v13, v13, v15, vcc
	v_cndmask_b32_e32 v12, v12, v14, vcc
	v_add_u32_e32 v14, 1, v12
	v_cmp_le_u32_e32 vcc, s8, v13
	v_cndmask_b32_e32 v28, v12, v14, vcc
.LBB24_15:                              ;   in Loop: Header=BB24_11 Depth=1
	s_or_b64 exec, exec, s[0:1]
	v_or_b32_e32 v25, s9, v7
	v_cmp_ne_u64_e32 vcc, 0, v[24:25]
                                        ; implicit-def: $vgpr30_vgpr31
	s_and_saveexec_b64 s[0:1], vcc
	s_xor_b64 s[2:3], exec, s[0:1]
	s_cbranch_execz .LBB24_17
; %bb.16:                               ;   in Loop: Header=BB24_11 Depth=1
	s_ashr_i32 s4, s9, 31
	s_add_u32 s0, s8, s4
	s_mov_b32 s5, s4
	s_addc_u32 s1, s9, s4
	s_xor_b64 s[6:7], s[0:1], s[4:5]
	v_cvt_f32_u32_e32 v12, s6
	v_cvt_f32_u32_e32 v13, s7
	s_sub_u32 s0, 0, s6
	s_subb_u32 s1, 0, s7
	v_mac_f32_e32 v12, 0x4f800000, v13
	v_rcp_f32_e32 v12, v12
	v_mul_f32_e32 v12, 0x5f7ffffc, v12
	v_mul_f32_e32 v13, 0x2f800000, v12
	v_trunc_f32_e32 v13, v13
	v_mac_f32_e32 v12, 0xcf800000, v13
	v_cvt_u32_f32_e32 v13, v13
	v_cvt_u32_f32_e32 v12, v12
	v_mul_lo_u32 v14, s0, v13
	v_mul_hi_u32 v16, s0, v12
	v_mul_lo_u32 v15, s1, v12
	v_add_u32_e32 v14, v16, v14
	v_mul_lo_u32 v17, s0, v12
	v_add_u32_e32 v14, v14, v15
	v_mul_lo_u32 v16, v12, v14
	v_mul_hi_u32 v18, v12, v17
	v_mul_hi_u32 v15, v12, v14
	v_add_co_u32_e32 v16, vcc, v18, v16
	v_addc_co_u32_e32 v15, vcc, 0, v15, vcc
	v_mul_hi_u32 v19, v13, v17
	v_mul_lo_u32 v17, v13, v17
	v_add_co_u32_e32 v16, vcc, v16, v17
	v_mul_hi_u32 v18, v13, v14
	v_addc_co_u32_e32 v15, vcc, v15, v19, vcc
	v_addc_co_u32_e32 v16, vcc, 0, v18, vcc
	v_mul_lo_u32 v14, v13, v14
	v_add_co_u32_e32 v14, vcc, v15, v14
	v_addc_co_u32_e32 v15, vcc, 0, v16, vcc
	v_add_co_u32_e32 v12, vcc, v12, v14
	v_addc_co_u32_e32 v13, vcc, v13, v15, vcc
	v_mul_lo_u32 v14, s0, v13
	v_mul_hi_u32 v15, s0, v12
	v_add_u32_e32 v14, v15, v14
	v_mul_lo_u32 v15, s1, v12
	v_add_u32_e32 v14, v14, v15
	v_mul_lo_u32 v16, s0, v12
	v_mul_hi_u32 v17, v13, v16
	v_mul_lo_u32 v18, v13, v16
	v_mul_lo_u32 v25, v12, v14
	v_mul_hi_u32 v16, v12, v16
	v_mul_hi_u32 v19, v12, v14
	v_add_co_u32_e32 v16, vcc, v16, v25
	v_addc_co_u32_e32 v19, vcc, 0, v19, vcc
	v_add_co_u32_e32 v16, vcc, v16, v18
	v_mul_hi_u32 v15, v13, v14
	v_addc_co_u32_e32 v16, vcc, v19, v17, vcc
	v_addc_co_u32_e32 v15, vcc, 0, v15, vcc
	v_mul_lo_u32 v14, v13, v14
	v_add_co_u32_e32 v14, vcc, v16, v14
	v_addc_co_u32_e32 v15, vcc, 0, v15, vcc
	v_add_co_u32_e32 v14, vcc, v12, v14
	v_addc_co_u32_e32 v15, vcc, v13, v15, vcc
	v_ashrrev_i32_e32 v16, 31, v7
	v_add_co_u32_e32 v12, vcc, v6, v16
	v_addc_co_u32_e32 v13, vcc, v7, v16, vcc
	v_xor_b32_e32 v18, v12, v16
	v_xor_b32_e32 v17, v13, v16
	v_mad_u64_u32 v[12:13], s[0:1], v18, v15, 0
	v_mul_hi_u32 v19, v18, v14
	v_add_co_u32_e32 v19, vcc, v19, v12
	v_addc_co_u32_e32 v25, vcc, 0, v13, vcc
	v_mad_u64_u32 v[12:13], s[0:1], v17, v15, 0
	v_mad_u64_u32 v[14:15], s[0:1], v17, v14, 0
	v_add_co_u32_e32 v14, vcc, v19, v14
	v_addc_co_u32_e32 v14, vcc, v25, v15, vcc
	v_addc_co_u32_e32 v13, vcc, 0, v13, vcc
	v_add_co_u32_e32 v14, vcc, v14, v12
	v_addc_co_u32_e32 v15, vcc, 0, v13, vcc
	v_mul_lo_u32 v19, s7, v14
	v_mul_lo_u32 v25, s6, v15
	v_mad_u64_u32 v[12:13], s[0:1], s6, v14, 0
	v_add3_u32 v13, v13, v25, v19
	v_sub_u32_e32 v19, v17, v13
	v_mov_b32_e32 v25, s7
	v_sub_co_u32_e32 v12, vcc, v18, v12
	v_subb_co_u32_e64 v18, s[0:1], v19, v25, vcc
	v_subrev_co_u32_e64 v19, s[0:1], s6, v12
	v_subbrev_co_u32_e64 v18, s[0:1], 0, v18, s[0:1]
	v_cmp_le_u32_e64 s[0:1], s7, v18
	v_cndmask_b32_e64 v25, 0, -1, s[0:1]
	v_cmp_le_u32_e64 s[0:1], s6, v19
	v_cndmask_b32_e64 v19, 0, -1, s[0:1]
	v_cmp_eq_u32_e64 s[0:1], s7, v18
	v_cndmask_b32_e64 v18, v25, v19, s[0:1]
	v_add_co_u32_e64 v19, s[0:1], 2, v14
	v_subb_co_u32_e32 v13, vcc, v17, v13, vcc
	v_addc_co_u32_e64 v25, s[0:1], 0, v15, s[0:1]
	v_cmp_le_u32_e32 vcc, s7, v13
	v_add_co_u32_e64 v30, s[0:1], 1, v14
	v_cndmask_b32_e64 v17, 0, -1, vcc
	v_cmp_le_u32_e32 vcc, s6, v12
	v_addc_co_u32_e64 v31, s[0:1], 0, v15, s[0:1]
	v_cndmask_b32_e64 v12, 0, -1, vcc
	v_cmp_eq_u32_e32 vcc, s7, v13
	v_cmp_ne_u32_e64 s[0:1], 0, v18
	v_cndmask_b32_e32 v12, v17, v12, vcc
	v_cmp_ne_u32_e32 vcc, 0, v12
	v_cndmask_b32_e64 v13, v30, v19, s[0:1]
	v_cndmask_b32_e64 v18, v31, v25, s[0:1]
	v_cndmask_b32_e32 v13, v14, v13, vcc
	v_xor_b32_e32 v14, s4, v16
	v_cndmask_b32_e32 v12, v15, v18, vcc
	v_xor_b32_e32 v13, v13, v14
	v_xor_b32_e32 v12, v12, v14
	v_sub_co_u32_e32 v30, vcc, v13, v14
	v_subb_co_u32_e32 v31, vcc, v12, v14, vcc
.LBB24_17:                              ;   in Loop: Header=BB24_11 Depth=1
	s_andn2_saveexec_b64 s[0:1], s[2:3]
	s_cbranch_execz .LBB24_19
; %bb.18:                               ;   in Loop: Header=BB24_11 Depth=1
	v_mul_f32_e32 v12, 0x4f7ffffe, v1
	v_cvt_u32_f32_e32 v12, v12
	s_sub_i32 s2, 0, s8
	v_mov_b32_e32 v31, v24
	v_mul_lo_u32 v13, s2, v12
	v_mul_hi_u32 v13, v12, v13
	v_add_u32_e32 v12, v12, v13
	v_mul_hi_u32 v12, v6, v12
	v_mul_lo_u32 v13, v12, s8
	v_sub_u32_e32 v13, v6, v13
	v_add_u32_e32 v14, 1, v12
	v_subrev_u32_e32 v15, s8, v13
	v_cmp_le_u32_e32 vcc, s8, v13
	v_cndmask_b32_e32 v13, v13, v15, vcc
	v_cndmask_b32_e32 v12, v12, v14, vcc
	v_add_u32_e32 v14, 1, v12
	v_cmp_le_u32_e32 vcc, s8, v13
	v_cndmask_b32_e32 v30, v12, v14, vcc
.LBB24_19:                              ;   in Loop: Header=BB24_11 Depth=1
	s_or_b64 exec, exec, s[0:1]
	v_or_b32_e32 v25, s9, v9
	v_cmp_ne_u64_e32 vcc, 0, v[24:25]
                                        ; implicit-def: $vgpr32_vgpr33
	s_and_saveexec_b64 s[0:1], vcc
	s_xor_b64 s[2:3], exec, s[0:1]
	s_cbranch_execz .LBB24_21
; %bb.20:                               ;   in Loop: Header=BB24_11 Depth=1
	s_ashr_i32 s4, s9, 31
	s_add_u32 s0, s8, s4
	s_mov_b32 s5, s4
	s_addc_u32 s1, s9, s4
	s_xor_b64 s[6:7], s[0:1], s[4:5]
	v_cvt_f32_u32_e32 v12, s6
	v_cvt_f32_u32_e32 v13, s7
	s_sub_u32 s0, 0, s6
	s_subb_u32 s1, 0, s7
	v_mac_f32_e32 v12, 0x4f800000, v13
	v_rcp_f32_e32 v12, v12
	v_mul_f32_e32 v12, 0x5f7ffffc, v12
	v_mul_f32_e32 v13, 0x2f800000, v12
	v_trunc_f32_e32 v13, v13
	v_mac_f32_e32 v12, 0xcf800000, v13
	v_cvt_u32_f32_e32 v13, v13
	v_cvt_u32_f32_e32 v12, v12
	v_mul_lo_u32 v14, s0, v13
	v_mul_hi_u32 v16, s0, v12
	v_mul_lo_u32 v15, s1, v12
	v_add_u32_e32 v14, v16, v14
	v_mul_lo_u32 v17, s0, v12
	v_add_u32_e32 v14, v14, v15
	v_mul_lo_u32 v16, v12, v14
	v_mul_hi_u32 v18, v12, v17
	v_mul_hi_u32 v15, v12, v14
	v_add_co_u32_e32 v16, vcc, v18, v16
	v_addc_co_u32_e32 v15, vcc, 0, v15, vcc
	v_mul_hi_u32 v19, v13, v17
	v_mul_lo_u32 v17, v13, v17
	v_add_co_u32_e32 v16, vcc, v16, v17
	v_mul_hi_u32 v18, v13, v14
	v_addc_co_u32_e32 v15, vcc, v15, v19, vcc
	v_addc_co_u32_e32 v16, vcc, 0, v18, vcc
	v_mul_lo_u32 v14, v13, v14
	v_add_co_u32_e32 v14, vcc, v15, v14
	v_addc_co_u32_e32 v15, vcc, 0, v16, vcc
	v_add_co_u32_e32 v12, vcc, v12, v14
	v_addc_co_u32_e32 v13, vcc, v13, v15, vcc
	v_mul_lo_u32 v14, s0, v13
	v_mul_hi_u32 v15, s0, v12
	v_add_u32_e32 v14, v15, v14
	v_mul_lo_u32 v15, s1, v12
	v_add_u32_e32 v14, v14, v15
	v_mul_lo_u32 v16, s0, v12
	v_mul_hi_u32 v17, v13, v16
	v_mul_lo_u32 v18, v13, v16
	v_mul_lo_u32 v25, v12, v14
	v_mul_hi_u32 v16, v12, v16
	v_mul_hi_u32 v19, v12, v14
	v_add_co_u32_e32 v16, vcc, v16, v25
	v_addc_co_u32_e32 v19, vcc, 0, v19, vcc
	v_add_co_u32_e32 v16, vcc, v16, v18
	v_mul_hi_u32 v15, v13, v14
	v_addc_co_u32_e32 v16, vcc, v19, v17, vcc
	v_addc_co_u32_e32 v15, vcc, 0, v15, vcc
	v_mul_lo_u32 v14, v13, v14
	v_add_co_u32_e32 v14, vcc, v16, v14
	v_addc_co_u32_e32 v15, vcc, 0, v15, vcc
	v_add_co_u32_e32 v14, vcc, v12, v14
	v_addc_co_u32_e32 v15, vcc, v13, v15, vcc
	v_ashrrev_i32_e32 v16, 31, v9
	v_add_co_u32_e32 v12, vcc, v8, v16
	v_addc_co_u32_e32 v13, vcc, v9, v16, vcc
	v_xor_b32_e32 v18, v12, v16
	v_xor_b32_e32 v17, v13, v16
	v_mad_u64_u32 v[12:13], s[0:1], v18, v15, 0
	v_mul_hi_u32 v19, v18, v14
	v_add_co_u32_e32 v19, vcc, v19, v12
	v_addc_co_u32_e32 v25, vcc, 0, v13, vcc
	v_mad_u64_u32 v[12:13], s[0:1], v17, v15, 0
	v_mad_u64_u32 v[14:15], s[0:1], v17, v14, 0
	v_add_co_u32_e32 v14, vcc, v19, v14
	v_addc_co_u32_e32 v14, vcc, v25, v15, vcc
	v_addc_co_u32_e32 v13, vcc, 0, v13, vcc
	v_add_co_u32_e32 v14, vcc, v14, v12
	v_addc_co_u32_e32 v15, vcc, 0, v13, vcc
	v_mul_lo_u32 v19, s7, v14
	v_mul_lo_u32 v25, s6, v15
	v_mad_u64_u32 v[12:13], s[0:1], s6, v14, 0
	v_add3_u32 v13, v13, v25, v19
	v_sub_u32_e32 v19, v17, v13
	v_mov_b32_e32 v25, s7
	v_sub_co_u32_e32 v12, vcc, v18, v12
	v_subb_co_u32_e64 v18, s[0:1], v19, v25, vcc
	v_subrev_co_u32_e64 v19, s[0:1], s6, v12
	v_subbrev_co_u32_e64 v18, s[0:1], 0, v18, s[0:1]
	v_cmp_le_u32_e64 s[0:1], s7, v18
	v_cndmask_b32_e64 v25, 0, -1, s[0:1]
	v_cmp_le_u32_e64 s[0:1], s6, v19
	v_cndmask_b32_e64 v19, 0, -1, s[0:1]
	v_cmp_eq_u32_e64 s[0:1], s7, v18
	v_cndmask_b32_e64 v18, v25, v19, s[0:1]
	v_add_co_u32_e64 v19, s[0:1], 2, v14
	v_subb_co_u32_e32 v13, vcc, v17, v13, vcc
	v_addc_co_u32_e64 v25, s[0:1], 0, v15, s[0:1]
	v_cmp_le_u32_e32 vcc, s7, v13
	v_add_co_u32_e64 v32, s[0:1], 1, v14
	v_cndmask_b32_e64 v17, 0, -1, vcc
	v_cmp_le_u32_e32 vcc, s6, v12
	v_addc_co_u32_e64 v33, s[0:1], 0, v15, s[0:1]
	v_cndmask_b32_e64 v12, 0, -1, vcc
	v_cmp_eq_u32_e32 vcc, s7, v13
	v_cmp_ne_u32_e64 s[0:1], 0, v18
	v_cndmask_b32_e32 v12, v17, v12, vcc
	v_cmp_ne_u32_e32 vcc, 0, v12
	v_cndmask_b32_e64 v13, v32, v19, s[0:1]
	v_cndmask_b32_e64 v18, v33, v25, s[0:1]
	v_cndmask_b32_e32 v13, v14, v13, vcc
	v_xor_b32_e32 v14, s4, v16
	v_cndmask_b32_e32 v12, v15, v18, vcc
	v_xor_b32_e32 v13, v13, v14
	v_xor_b32_e32 v12, v12, v14
	v_sub_co_u32_e32 v32, vcc, v13, v14
	v_subb_co_u32_e32 v33, vcc, v12, v14, vcc
.LBB24_21:                              ;   in Loop: Header=BB24_11 Depth=1
	s_andn2_saveexec_b64 s[0:1], s[2:3]
	s_cbranch_execz .LBB24_23
; %bb.22:                               ;   in Loop: Header=BB24_11 Depth=1
	v_mul_f32_e32 v12, 0x4f7ffffe, v1
	v_cvt_u32_f32_e32 v12, v12
	s_sub_i32 s2, 0, s8
	v_mov_b32_e32 v33, v24
	v_mul_lo_u32 v13, s2, v12
	v_mul_hi_u32 v13, v12, v13
	v_add_u32_e32 v12, v12, v13
	v_mul_hi_u32 v12, v8, v12
	v_mul_lo_u32 v13, v12, s8
	v_sub_u32_e32 v13, v8, v13
	v_add_u32_e32 v14, 1, v12
	v_subrev_u32_e32 v15, s8, v13
	v_cmp_le_u32_e32 vcc, s8, v13
	v_cndmask_b32_e32 v13, v13, v15, vcc
	v_cndmask_b32_e32 v12, v12, v14, vcc
	v_add_u32_e32 v14, 1, v12
	v_cmp_le_u32_e32 vcc, s8, v13
	v_cndmask_b32_e32 v32, v12, v14, vcc
.LBB24_23:                              ;   in Loop: Header=BB24_11 Depth=1
	s_or_b64 exec, exec, s[0:1]
	v_or_b32_e32 v25, s9, v11
	v_cmp_ne_u64_e32 vcc, 0, v[24:25]
                                        ; implicit-def: $vgpr34_vgpr35
	s_and_saveexec_b64 s[0:1], vcc
	s_xor_b64 s[2:3], exec, s[0:1]
	s_cbranch_execz .LBB24_25
; %bb.24:                               ;   in Loop: Header=BB24_11 Depth=1
	s_ashr_i32 s4, s9, 31
	s_add_u32 s0, s8, s4
	s_mov_b32 s5, s4
	s_addc_u32 s1, s9, s4
	s_xor_b64 s[6:7], s[0:1], s[4:5]
	v_cvt_f32_u32_e32 v1, s6
	v_cvt_f32_u32_e32 v12, s7
	s_sub_u32 s0, 0, s6
	s_subb_u32 s1, 0, s7
	v_mac_f32_e32 v1, 0x4f800000, v12
	v_rcp_f32_e32 v1, v1
	v_mul_f32_e32 v1, 0x5f7ffffc, v1
	v_mul_f32_e32 v12, 0x2f800000, v1
	v_trunc_f32_e32 v12, v12
	v_mac_f32_e32 v1, 0xcf800000, v12
	v_cvt_u32_f32_e32 v12, v12
	v_cvt_u32_f32_e32 v1, v1
	v_mul_lo_u32 v13, s0, v12
	v_mul_hi_u32 v15, s0, v1
	v_mul_lo_u32 v14, s1, v1
	v_add_u32_e32 v13, v15, v13
	v_mul_lo_u32 v16, s0, v1
	v_add_u32_e32 v13, v13, v14
	v_mul_lo_u32 v15, v1, v13
	v_mul_hi_u32 v17, v1, v16
	v_mul_hi_u32 v14, v1, v13
	v_add_co_u32_e32 v15, vcc, v17, v15
	v_addc_co_u32_e32 v14, vcc, 0, v14, vcc
	v_mul_hi_u32 v18, v12, v16
	v_mul_lo_u32 v16, v12, v16
	v_add_co_u32_e32 v15, vcc, v15, v16
	v_mul_hi_u32 v17, v12, v13
	v_addc_co_u32_e32 v14, vcc, v14, v18, vcc
	v_addc_co_u32_e32 v15, vcc, 0, v17, vcc
	v_mul_lo_u32 v13, v12, v13
	v_add_co_u32_e32 v13, vcc, v14, v13
	v_addc_co_u32_e32 v14, vcc, 0, v15, vcc
	v_add_co_u32_e32 v1, vcc, v1, v13
	v_addc_co_u32_e32 v12, vcc, v12, v14, vcc
	v_mul_lo_u32 v13, s0, v12
	v_mul_hi_u32 v14, s0, v1
	v_add_u32_e32 v13, v14, v13
	v_mul_lo_u32 v14, s1, v1
	v_add_u32_e32 v13, v13, v14
	v_mul_lo_u32 v15, s0, v1
	v_mul_hi_u32 v16, v12, v15
	v_mul_lo_u32 v17, v12, v15
	v_mul_lo_u32 v19, v1, v13
	v_mul_hi_u32 v15, v1, v15
	v_mul_hi_u32 v18, v1, v13
	v_add_co_u32_e32 v15, vcc, v15, v19
	v_addc_co_u32_e32 v18, vcc, 0, v18, vcc
	v_add_co_u32_e32 v15, vcc, v15, v17
	v_mul_hi_u32 v14, v12, v13
	v_addc_co_u32_e32 v15, vcc, v18, v16, vcc
	v_addc_co_u32_e32 v14, vcc, 0, v14, vcc
	v_mul_lo_u32 v13, v12, v13
	v_add_co_u32_e32 v13, vcc, v15, v13
	v_addc_co_u32_e32 v14, vcc, 0, v14, vcc
	v_add_co_u32_e32 v1, vcc, v1, v13
	v_addc_co_u32_e32 v14, vcc, v12, v14, vcc
	v_ashrrev_i32_e32 v16, 31, v11
	v_add_co_u32_e32 v12, vcc, v10, v16
	v_addc_co_u32_e32 v13, vcc, v11, v16, vcc
	v_xor_b32_e32 v18, v12, v16
	v_xor_b32_e32 v17, v13, v16
	v_mad_u64_u32 v[12:13], s[0:1], v18, v14, 0
	v_mul_hi_u32 v15, v18, v1
	v_add_co_u32_e32 v19, vcc, v15, v12
	v_addc_co_u32_e32 v25, vcc, 0, v13, vcc
	v_mad_u64_u32 v[12:13], s[0:1], v17, v14, 0
	v_mad_u64_u32 v[14:15], s[0:1], v17, v1, 0
	v_add_co_u32_e32 v1, vcc, v19, v14
	v_addc_co_u32_e32 v1, vcc, v25, v15, vcc
	v_addc_co_u32_e32 v13, vcc, 0, v13, vcc
	v_add_co_u32_e32 v1, vcc, v1, v12
	v_addc_co_u32_e32 v14, vcc, 0, v13, vcc
	v_mul_lo_u32 v15, s7, v1
	v_mul_lo_u32 v19, s6, v14
	v_mad_u64_u32 v[12:13], s[0:1], s6, v1, 0
	v_add3_u32 v13, v13, v19, v15
	v_sub_u32_e32 v15, v17, v13
	v_mov_b32_e32 v19, s7
	v_sub_co_u32_e32 v12, vcc, v18, v12
	v_subb_co_u32_e64 v15, s[0:1], v15, v19, vcc
	v_subrev_co_u32_e64 v18, s[0:1], s6, v12
	v_subbrev_co_u32_e64 v15, s[0:1], 0, v15, s[0:1]
	v_cmp_le_u32_e64 s[0:1], s7, v15
	v_cndmask_b32_e64 v19, 0, -1, s[0:1]
	v_cmp_le_u32_e64 s[0:1], s6, v18
	v_cndmask_b32_e64 v18, 0, -1, s[0:1]
	v_cmp_eq_u32_e64 s[0:1], s7, v15
	v_cndmask_b32_e64 v15, v19, v18, s[0:1]
	v_add_co_u32_e64 v18, s[0:1], 2, v1
	v_subb_co_u32_e32 v13, vcc, v17, v13, vcc
	v_addc_co_u32_e64 v19, s[0:1], 0, v14, s[0:1]
	v_cmp_le_u32_e32 vcc, s7, v13
	v_add_co_u32_e64 v25, s[0:1], 1, v1
	v_cndmask_b32_e64 v17, 0, -1, vcc
	v_cmp_le_u32_e32 vcc, s6, v12
	v_addc_co_u32_e64 v34, s[0:1], 0, v14, s[0:1]
	v_cndmask_b32_e64 v12, 0, -1, vcc
	v_cmp_eq_u32_e32 vcc, s7, v13
	v_cmp_ne_u32_e64 s[0:1], 0, v15
	v_cndmask_b32_e32 v12, v17, v12, vcc
	v_cmp_ne_u32_e32 vcc, 0, v12
	v_cndmask_b32_e64 v13, v25, v18, s[0:1]
	v_cndmask_b32_e64 v15, v34, v19, s[0:1]
	v_cndmask_b32_e32 v1, v1, v13, vcc
	v_xor_b32_e32 v13, s4, v16
	v_cndmask_b32_e32 v12, v14, v15, vcc
	v_xor_b32_e32 v1, v1, v13
	v_xor_b32_e32 v12, v12, v13
	v_sub_co_u32_e32 v34, vcc, v1, v13
	v_subb_co_u32_e32 v35, vcc, v12, v13, vcc
                                        ; implicit-def: $vgpr1
.LBB24_25:                              ;   in Loop: Header=BB24_11 Depth=1
	s_andn2_saveexec_b64 s[0:1], s[2:3]
	s_cbranch_execz .LBB24_27
; %bb.26:                               ;   in Loop: Header=BB24_11 Depth=1
	v_mul_f32_e32 v1, 0x4f7ffffe, v1
	v_cvt_u32_f32_e32 v1, v1
	s_sub_i32 s2, 0, s8
	v_mov_b32_e32 v35, v24
	v_mul_lo_u32 v12, s2, v1
	v_mul_hi_u32 v12, v1, v12
	v_add_u32_e32 v1, v1, v12
	v_mul_hi_u32 v1, v10, v1
	v_mul_lo_u32 v12, v1, s8
	v_sub_u32_e32 v12, v10, v12
	v_add_u32_e32 v13, 1, v1
	v_subrev_u32_e32 v14, s8, v12
	v_cmp_le_u32_e32 vcc, s8, v12
	v_cndmask_b32_e32 v12, v12, v14, vcc
	v_cndmask_b32_e32 v1, v1, v13, vcc
	v_add_u32_e32 v13, 1, v1
	v_cmp_le_u32_e32 vcc, s8, v12
	v_cndmask_b32_e32 v34, v1, v13, vcc
.LBB24_27:                              ;   in Loop: Header=BB24_11 Depth=1
	s_or_b64 exec, exec, s[0:1]
	v_cndmask_b32_e64 v1, 0, 1, s[46:47]
	v_cmp_ne_u32_e64 s[0:1], 1, v1
	s_andn2_b64 vcc, exec, s[46:47]
                                        ; implicit-def: $vgpr12_vgpr13_vgpr14_vgpr15_vgpr16_vgpr17_vgpr18_vgpr19
	s_cbranch_vccz .LBB24_31
; %bb.28:                               ;   in Loop: Header=BB24_11 Depth=1
	s_and_b64 vcc, exec, s[0:1]
	s_cbranch_vccz .LBB24_36
.LBB24_29:                              ;   in Loop: Header=BB24_11 Depth=1
	s_and_b64 vcc, exec, s[0:1]
	s_cbranch_vccz .LBB24_41
.LBB24_30:                              ;   in Loop: Header=BB24_11 Depth=1
	s_and_b64 vcc, exec, s[0:1]
	s_cbranch_vccnz .LBB24_10
	s_branch .LBB24_46
.LBB24_31:                              ;   in Loop: Header=BB24_11 Depth=1
	v_mov_b32_e32 v1, s62
	v_add_co_u32_e32 v12, vcc, s61, v0
	v_addc_co_u32_e32 v13, vcc, 0, v1, vcc
	v_mul_lo_u32 v1, s30, v29
	v_mul_lo_u32 v16, s31, v28
	v_mad_u64_u32 v[14:15], s[2:3], s30, v28, v[12:13]
	v_add3_u32 v15, v16, v15, v1
	v_or_b32_e32 v25, s23, v15
	v_cmp_ne_u64_e32 vcc, 0, v[24:25]
                                        ; implicit-def: $vgpr12_vgpr13
	s_and_saveexec_b64 s[2:3], vcc
	s_xor_b64 s[6:7], exec, s[2:3]
	s_cbranch_execz .LBB24_33
; %bb.32:                               ;   in Loop: Header=BB24_11 Depth=1
	s_ashr_i32 s2, s23, 31
	s_add_u32 s4, s22, s2
	s_mov_b32 s3, s2
	s_addc_u32 s5, s23, s2
	s_xor_b64 s[48:49], s[4:5], s[2:3]
	v_cvt_f32_u32_e32 v1, s48
	v_cvt_f32_u32_e32 v12, s49
	s_sub_u32 s2, 0, s48
	s_subb_u32 s3, 0, s49
	v_mac_f32_e32 v1, 0x4f800000, v12
	v_rcp_f32_e32 v1, v1
	v_mul_f32_e32 v1, 0x5f7ffffc, v1
	v_mul_f32_e32 v12, 0x2f800000, v1
	v_trunc_f32_e32 v12, v12
	v_mac_f32_e32 v1, 0xcf800000, v12
	v_cvt_u32_f32_e32 v12, v12
	v_cvt_u32_f32_e32 v1, v1
	v_mul_lo_u32 v13, s2, v12
	v_mul_hi_u32 v17, s2, v1
	v_mul_lo_u32 v16, s3, v1
	v_add_u32_e32 v13, v17, v13
	v_mul_lo_u32 v18, s2, v1
	v_add_u32_e32 v13, v13, v16
	v_mul_lo_u32 v17, v1, v13
	v_mul_hi_u32 v19, v1, v18
	v_mul_hi_u32 v16, v1, v13
	v_add_co_u32_e32 v17, vcc, v19, v17
	v_addc_co_u32_e32 v16, vcc, 0, v16, vcc
	v_mul_hi_u32 v25, v12, v18
	v_mul_lo_u32 v18, v12, v18
	v_add_co_u32_e32 v17, vcc, v17, v18
	v_mul_hi_u32 v19, v12, v13
	v_addc_co_u32_e32 v16, vcc, v16, v25, vcc
	v_addc_co_u32_e32 v17, vcc, 0, v19, vcc
	v_mul_lo_u32 v13, v12, v13
	v_add_co_u32_e32 v13, vcc, v16, v13
	v_addc_co_u32_e32 v16, vcc, 0, v17, vcc
	v_add_co_u32_e32 v1, vcc, v1, v13
	v_addc_co_u32_e32 v12, vcc, v12, v16, vcc
	v_mul_lo_u32 v13, s2, v12
	v_mul_hi_u32 v16, s2, v1
	v_add_u32_e32 v13, v16, v13
	v_mul_lo_u32 v16, s3, v1
	v_add_u32_e32 v13, v13, v16
	v_mul_lo_u32 v17, s2, v1
	v_mul_hi_u32 v18, v12, v17
	v_mul_lo_u32 v19, v12, v17
	v_mul_lo_u32 v36, v1, v13
	v_mul_hi_u32 v17, v1, v17
	v_mul_hi_u32 v25, v1, v13
	v_add_co_u32_e32 v17, vcc, v17, v36
	v_addc_co_u32_e32 v25, vcc, 0, v25, vcc
	v_add_co_u32_e32 v17, vcc, v17, v19
	v_mul_hi_u32 v16, v12, v13
	v_addc_co_u32_e32 v17, vcc, v25, v18, vcc
	v_addc_co_u32_e32 v16, vcc, 0, v16, vcc
	v_mul_lo_u32 v13, v12, v13
	v_add_co_u32_e32 v13, vcc, v17, v13
	v_addc_co_u32_e32 v16, vcc, 0, v16, vcc
	v_add_co_u32_e32 v1, vcc, v1, v13
	v_addc_co_u32_e32 v16, vcc, v12, v16, vcc
	v_ashrrev_i32_e32 v17, 31, v15
	v_add_co_u32_e32 v12, vcc, v14, v17
	v_addc_co_u32_e32 v13, vcc, v15, v17, vcc
	v_xor_b32_e32 v19, v12, v17
	v_xor_b32_e32 v18, v13, v17
	v_mad_u64_u32 v[12:13], s[2:3], v19, v16, 0
	v_mul_hi_u32 v14, v19, v1
	v_add_co_u32_e32 v25, vcc, v14, v12
	v_addc_co_u32_e32 v36, vcc, 0, v13, vcc
	v_mad_u64_u32 v[14:15], s[2:3], v18, v1, 0
	v_add_co_u32_e32 v1, vcc, v25, v14
	v_mad_u64_u32 v[12:13], s[2:3], v18, v16, 0
	v_addc_co_u32_e32 v1, vcc, v36, v15, vcc
	v_addc_co_u32_e32 v13, vcc, 0, v13, vcc
	v_add_co_u32_e32 v1, vcc, v1, v12
	v_addc_co_u32_e32 v12, vcc, 0, v13, vcc
	v_mul_lo_u32 v14, s49, v1
	v_mul_lo_u32 v15, s48, v12
	v_mad_u64_u32 v[12:13], s[2:3], s48, v1, 0
	v_add3_u32 v1, v13, v15, v14
	v_sub_u32_e32 v13, v18, v1
	v_mov_b32_e32 v14, s49
	v_sub_co_u32_e32 v12, vcc, v19, v12
	v_subb_co_u32_e64 v13, s[2:3], v13, v14, vcc
	v_subrev_co_u32_e64 v15, s[2:3], s48, v12
	v_subbrev_co_u32_e64 v16, s[4:5], 0, v13, s[2:3]
	v_cmp_le_u32_e64 s[4:5], s49, v16
	v_cndmask_b32_e64 v19, 0, -1, s[4:5]
	v_cmp_le_u32_e64 s[4:5], s48, v15
	v_subb_co_u32_e64 v13, s[2:3], v13, v14, s[2:3]
	v_cndmask_b32_e64 v25, 0, -1, s[4:5]
	v_cmp_eq_u32_e64 s[4:5], s49, v16
	v_subrev_co_u32_e64 v14, s[2:3], s48, v15
	v_cndmask_b32_e64 v19, v19, v25, s[4:5]
	v_subbrev_co_u32_e64 v13, s[2:3], 0, v13, s[2:3]
	v_subb_co_u32_e32 v1, vcc, v18, v1, vcc
	v_cmp_ne_u32_e64 s[2:3], 0, v19
	v_cmp_le_u32_e32 vcc, s49, v1
	v_cndmask_b32_e64 v13, v16, v13, s[2:3]
	v_cndmask_b32_e64 v16, 0, -1, vcc
	v_cmp_le_u32_e32 vcc, s48, v12
	v_cndmask_b32_e64 v18, 0, -1, vcc
	v_cmp_eq_u32_e32 vcc, s49, v1
	v_cndmask_b32_e32 v16, v16, v18, vcc
	v_cmp_ne_u32_e32 vcc, 0, v16
	v_cndmask_b32_e32 v1, v1, v13, vcc
	v_cndmask_b32_e64 v13, v15, v14, s[2:3]
	v_cndmask_b32_e32 v12, v12, v13, vcc
	v_xor_b32_e32 v12, v12, v17
	v_xor_b32_e32 v1, v1, v17
	v_sub_co_u32_e32 v12, vcc, v12, v17
	v_subb_co_u32_e32 v13, vcc, v1, v17, vcc
                                        ; implicit-def: $vgpr14_vgpr15
.LBB24_33:                              ;   in Loop: Header=BB24_11 Depth=1
	s_andn2_saveexec_b64 s[2:3], s[6:7]
	s_cbranch_execz .LBB24_35
; %bb.34:                               ;   in Loop: Header=BB24_11 Depth=1
	v_cvt_f32_u32_e32 v1, s22
	s_sub_i32 s4, 0, s22
	v_mov_b32_e32 v13, v24
	v_rcp_iflag_f32_e32 v1, v1
	v_mul_f32_e32 v1, 0x4f7ffffe, v1
	v_cvt_u32_f32_e32 v1, v1
	v_mul_lo_u32 v12, s4, v1
	v_mul_hi_u32 v12, v1, v12
	v_add_u32_e32 v1, v1, v12
	v_mul_hi_u32 v1, v14, v1
	v_mul_lo_u32 v1, v1, s22
	v_sub_u32_e32 v1, v14, v1
	v_subrev_u32_e32 v12, s22, v1
	v_cmp_le_u32_e32 vcc, s22, v1
	v_cndmask_b32_e32 v1, v1, v12, vcc
	v_subrev_u32_e32 v12, s22, v1
	v_cmp_le_u32_e32 vcc, s22, v1
	v_cndmask_b32_e32 v12, v1, v12, vcc
.LBB24_35:                              ;   in Loop: Header=BB24_11 Depth=1
	s_or_b64 exec, exec, s[2:3]
                                        ; kill: def $vgpr1 killed $sgpr0 killed $exec
	s_and_b64 vcc, exec, s[0:1]
	s_cbranch_vccnz .LBB24_29
.LBB24_36:                              ;   in Loop: Header=BB24_11 Depth=1
	v_mov_b32_e32 v1, s76
	v_add_co_u32_e32 v14, vcc, s75, v0
	v_addc_co_u32_e32 v15, vcc, 0, v1, vcc
	v_mul_lo_u32 v1, s30, v31
	v_mul_lo_u32 v25, s31, v30
	v_mad_u64_u32 v[36:37], s[2:3], s30, v30, v[14:15]
	v_add3_u32 v37, v25, v37, v1
	v_or_b32_e32 v25, s23, v37
	v_cmp_ne_u64_e32 vcc, 0, v[24:25]
                                        ; kill: def $vgpr14_vgpr15 killed $sgpr0_sgpr1 killed $exec
	s_and_saveexec_b64 s[2:3], vcc
	s_xor_b64 s[6:7], exec, s[2:3]
	s_cbranch_execz .LBB24_38
; %bb.37:                               ;   in Loop: Header=BB24_11 Depth=1
	s_ashr_i32 s2, s23, 31
	s_add_u32 s4, s22, s2
	s_mov_b32 s3, s2
	s_addc_u32 s5, s23, s2
	s_xor_b64 s[48:49], s[4:5], s[2:3]
	v_cvt_f32_u32_e32 v1, s48
	v_cvt_f32_u32_e32 v14, s49
	s_sub_u32 s2, 0, s48
	s_subb_u32 s3, 0, s49
	v_mac_f32_e32 v1, 0x4f800000, v14
	v_rcp_f32_e32 v1, v1
	v_mul_f32_e32 v1, 0x5f7ffffc, v1
	v_mul_f32_e32 v14, 0x2f800000, v1
	v_trunc_f32_e32 v14, v14
	v_mac_f32_e32 v1, 0xcf800000, v14
	v_cvt_u32_f32_e32 v14, v14
	v_cvt_u32_f32_e32 v1, v1
	v_mul_lo_u32 v15, s2, v14
	v_mul_hi_u32 v38, s2, v1
	v_mul_lo_u32 v25, s3, v1
	v_add_u32_e32 v15, v38, v15
	v_mul_lo_u32 v39, s2, v1
	v_add_u32_e32 v15, v15, v25
	v_mul_lo_u32 v38, v1, v15
	v_mul_hi_u32 v40, v1, v39
	v_mul_hi_u32 v25, v1, v15
	v_add_co_u32_e32 v38, vcc, v40, v38
	v_addc_co_u32_e32 v25, vcc, 0, v25, vcc
	v_mul_hi_u32 v41, v14, v39
	v_mul_lo_u32 v39, v14, v39
	v_add_co_u32_e32 v38, vcc, v38, v39
	v_mul_hi_u32 v40, v14, v15
	v_addc_co_u32_e32 v25, vcc, v25, v41, vcc
	v_addc_co_u32_e32 v38, vcc, 0, v40, vcc
	v_mul_lo_u32 v15, v14, v15
	v_add_co_u32_e32 v15, vcc, v25, v15
	v_addc_co_u32_e32 v25, vcc, 0, v38, vcc
	v_add_co_u32_e32 v1, vcc, v1, v15
	v_addc_co_u32_e32 v14, vcc, v14, v25, vcc
	v_mul_lo_u32 v15, s2, v14
	v_mul_hi_u32 v25, s2, v1
	v_add_u32_e32 v15, v25, v15
	v_mul_lo_u32 v25, s3, v1
	v_add_u32_e32 v15, v15, v25
	v_mul_lo_u32 v38, s2, v1
	v_mul_hi_u32 v39, v14, v38
	v_mul_lo_u32 v40, v14, v38
	v_mul_lo_u32 v42, v1, v15
	v_mul_hi_u32 v38, v1, v38
	v_mul_hi_u32 v41, v1, v15
	v_add_co_u32_e32 v38, vcc, v38, v42
	v_addc_co_u32_e32 v41, vcc, 0, v41, vcc
	v_add_co_u32_e32 v38, vcc, v38, v40
	v_mul_hi_u32 v25, v14, v15
	v_addc_co_u32_e32 v38, vcc, v41, v39, vcc
	v_addc_co_u32_e32 v25, vcc, 0, v25, vcc
	v_mul_lo_u32 v15, v14, v15
	v_add_co_u32_e32 v15, vcc, v38, v15
	v_addc_co_u32_e32 v25, vcc, 0, v25, vcc
	v_add_co_u32_e32 v1, vcc, v1, v15
	v_addc_co_u32_e32 v25, vcc, v14, v25, vcc
	v_ashrrev_i32_e32 v38, 31, v37
	v_add_co_u32_e32 v14, vcc, v36, v38
	v_addc_co_u32_e32 v15, vcc, v37, v38, vcc
	v_xor_b32_e32 v40, v14, v38
	v_xor_b32_e32 v39, v15, v38
	v_mad_u64_u32 v[14:15], s[2:3], v40, v25, 0
	v_mul_hi_u32 v36, v40, v1
	v_add_co_u32_e32 v41, vcc, v36, v14
	v_addc_co_u32_e32 v42, vcc, 0, v15, vcc
	v_mad_u64_u32 v[36:37], s[2:3], v39, v1, 0
	v_add_co_u32_e32 v1, vcc, v41, v36
	v_mad_u64_u32 v[14:15], s[2:3], v39, v25, 0
	v_addc_co_u32_e32 v1, vcc, v42, v37, vcc
	v_addc_co_u32_e32 v15, vcc, 0, v15, vcc
	v_add_co_u32_e32 v1, vcc, v1, v14
	v_addc_co_u32_e32 v14, vcc, 0, v15, vcc
	v_mul_lo_u32 v25, s49, v1
	v_mul_lo_u32 v36, s48, v14
	v_mad_u64_u32 v[14:15], s[2:3], s48, v1, 0
	v_add3_u32 v1, v15, v36, v25
	v_sub_u32_e32 v15, v39, v1
	v_mov_b32_e32 v25, s49
	v_sub_co_u32_e32 v14, vcc, v40, v14
	v_subb_co_u32_e64 v15, s[2:3], v15, v25, vcc
	v_subrev_co_u32_e64 v36, s[2:3], s48, v14
	v_subbrev_co_u32_e64 v37, s[4:5], 0, v15, s[2:3]
	v_cmp_le_u32_e64 s[4:5], s49, v37
	v_cndmask_b32_e64 v40, 0, -1, s[4:5]
	v_cmp_le_u32_e64 s[4:5], s48, v36
	v_subb_co_u32_e64 v15, s[2:3], v15, v25, s[2:3]
	v_cndmask_b32_e64 v41, 0, -1, s[4:5]
	v_cmp_eq_u32_e64 s[4:5], s49, v37
	v_subrev_co_u32_e64 v25, s[2:3], s48, v36
	v_cndmask_b32_e64 v40, v40, v41, s[4:5]
	v_subbrev_co_u32_e64 v15, s[2:3], 0, v15, s[2:3]
	v_subb_co_u32_e32 v1, vcc, v39, v1, vcc
	v_cmp_ne_u32_e64 s[2:3], 0, v40
	v_cmp_le_u32_e32 vcc, s49, v1
	v_cndmask_b32_e64 v15, v37, v15, s[2:3]
	v_cndmask_b32_e64 v37, 0, -1, vcc
	v_cmp_le_u32_e32 vcc, s48, v14
	v_cndmask_b32_e64 v39, 0, -1, vcc
	v_cmp_eq_u32_e32 vcc, s49, v1
	v_cndmask_b32_e32 v37, v37, v39, vcc
	v_cmp_ne_u32_e32 vcc, 0, v37
	v_cndmask_b32_e32 v1, v1, v15, vcc
	v_cndmask_b32_e64 v15, v36, v25, s[2:3]
	v_cndmask_b32_e32 v14, v14, v15, vcc
	v_xor_b32_e32 v14, v14, v38
	v_xor_b32_e32 v1, v1, v38
	v_sub_co_u32_e32 v14, vcc, v14, v38
	v_subb_co_u32_e32 v15, vcc, v1, v38, vcc
                                        ; implicit-def: $vgpr36_vgpr37
.LBB24_38:                              ;   in Loop: Header=BB24_11 Depth=1
	s_andn2_saveexec_b64 s[2:3], s[6:7]
	s_cbranch_execz .LBB24_40
; %bb.39:                               ;   in Loop: Header=BB24_11 Depth=1
	v_cvt_f32_u32_e32 v1, s22
	s_sub_i32 s4, 0, s22
	v_mov_b32_e32 v15, v24
	v_rcp_iflag_f32_e32 v1, v1
	v_mul_f32_e32 v1, 0x4f7ffffe, v1
	v_cvt_u32_f32_e32 v1, v1
	v_mul_lo_u32 v14, s4, v1
	v_mul_hi_u32 v14, v1, v14
	v_add_u32_e32 v1, v1, v14
	v_mul_hi_u32 v1, v36, v1
	v_mul_lo_u32 v1, v1, s22
	v_sub_u32_e32 v1, v36, v1
	v_subrev_u32_e32 v14, s22, v1
	v_cmp_le_u32_e32 vcc, s22, v1
	v_cndmask_b32_e32 v1, v1, v14, vcc
	v_subrev_u32_e32 v14, s22, v1
	v_cmp_le_u32_e32 vcc, s22, v1
	v_cndmask_b32_e32 v14, v1, v14, vcc
.LBB24_40:                              ;   in Loop: Header=BB24_11 Depth=1
	s_or_b64 exec, exec, s[2:3]
	s_and_b64 vcc, exec, s[0:1]
	s_cbranch_vccnz .LBB24_30
.LBB24_41:                              ;   in Loop: Header=BB24_11 Depth=1
	v_mov_b32_e32 v1, s72
	v_add_co_u32_e32 v16, vcc, s71, v0
	v_addc_co_u32_e32 v17, vcc, 0, v1, vcc
	v_mul_lo_u32 v1, s30, v33
	v_mul_lo_u32 v25, s31, v32
	v_mad_u64_u32 v[36:37], s[2:3], s30, v32, v[16:17]
	v_add3_u32 v37, v25, v37, v1
	v_or_b32_e32 v25, s23, v37
	v_cmp_ne_u64_e32 vcc, 0, v[24:25]
                                        ; kill: def $vgpr16_vgpr17 killed $sgpr0_sgpr1 killed $exec
	s_and_saveexec_b64 s[2:3], vcc
	s_xor_b64 s[6:7], exec, s[2:3]
	s_cbranch_execz .LBB24_43
; %bb.42:                               ;   in Loop: Header=BB24_11 Depth=1
	s_ashr_i32 s2, s23, 31
	s_add_u32 s4, s22, s2
	s_mov_b32 s3, s2
	s_addc_u32 s5, s23, s2
	s_xor_b64 s[48:49], s[4:5], s[2:3]
	v_cvt_f32_u32_e32 v1, s48
	v_cvt_f32_u32_e32 v16, s49
	s_sub_u32 s2, 0, s48
	s_subb_u32 s3, 0, s49
	v_mac_f32_e32 v1, 0x4f800000, v16
	v_rcp_f32_e32 v1, v1
	v_mul_f32_e32 v1, 0x5f7ffffc, v1
	v_mul_f32_e32 v16, 0x2f800000, v1
	v_trunc_f32_e32 v16, v16
	v_mac_f32_e32 v1, 0xcf800000, v16
	v_cvt_u32_f32_e32 v16, v16
	v_cvt_u32_f32_e32 v1, v1
	v_mul_lo_u32 v17, s2, v16
	v_mul_hi_u32 v38, s2, v1
	v_mul_lo_u32 v25, s3, v1
	v_add_u32_e32 v17, v38, v17
	v_mul_lo_u32 v39, s2, v1
	v_add_u32_e32 v17, v17, v25
	v_mul_lo_u32 v38, v1, v17
	v_mul_hi_u32 v40, v1, v39
	v_mul_hi_u32 v25, v1, v17
	v_add_co_u32_e32 v38, vcc, v40, v38
	v_addc_co_u32_e32 v25, vcc, 0, v25, vcc
	v_mul_hi_u32 v41, v16, v39
	v_mul_lo_u32 v39, v16, v39
	v_add_co_u32_e32 v38, vcc, v38, v39
	v_mul_hi_u32 v40, v16, v17
	v_addc_co_u32_e32 v25, vcc, v25, v41, vcc
	v_addc_co_u32_e32 v38, vcc, 0, v40, vcc
	v_mul_lo_u32 v17, v16, v17
	v_add_co_u32_e32 v17, vcc, v25, v17
	v_addc_co_u32_e32 v25, vcc, 0, v38, vcc
	v_add_co_u32_e32 v1, vcc, v1, v17
	v_addc_co_u32_e32 v16, vcc, v16, v25, vcc
	v_mul_lo_u32 v17, s2, v16
	v_mul_hi_u32 v25, s2, v1
	v_add_u32_e32 v17, v25, v17
	v_mul_lo_u32 v25, s3, v1
	v_add_u32_e32 v17, v17, v25
	v_mul_lo_u32 v38, s2, v1
	v_mul_hi_u32 v39, v16, v38
	v_mul_lo_u32 v40, v16, v38
	v_mul_lo_u32 v42, v1, v17
	v_mul_hi_u32 v38, v1, v38
	v_mul_hi_u32 v41, v1, v17
	v_add_co_u32_e32 v38, vcc, v38, v42
	v_addc_co_u32_e32 v41, vcc, 0, v41, vcc
	v_add_co_u32_e32 v38, vcc, v38, v40
	v_mul_hi_u32 v25, v16, v17
	v_addc_co_u32_e32 v38, vcc, v41, v39, vcc
	v_addc_co_u32_e32 v25, vcc, 0, v25, vcc
	v_mul_lo_u32 v17, v16, v17
	v_add_co_u32_e32 v17, vcc, v38, v17
	v_addc_co_u32_e32 v25, vcc, 0, v25, vcc
	v_add_co_u32_e32 v1, vcc, v1, v17
	v_addc_co_u32_e32 v25, vcc, v16, v25, vcc
	v_ashrrev_i32_e32 v38, 31, v37
	v_add_co_u32_e32 v16, vcc, v36, v38
	v_addc_co_u32_e32 v17, vcc, v37, v38, vcc
	v_xor_b32_e32 v40, v16, v38
	v_xor_b32_e32 v39, v17, v38
	v_mad_u64_u32 v[16:17], s[2:3], v40, v25, 0
	v_mul_hi_u32 v36, v40, v1
	v_add_co_u32_e32 v41, vcc, v36, v16
	v_addc_co_u32_e32 v42, vcc, 0, v17, vcc
	v_mad_u64_u32 v[36:37], s[2:3], v39, v1, 0
	v_add_co_u32_e32 v1, vcc, v41, v36
	v_mad_u64_u32 v[16:17], s[2:3], v39, v25, 0
	v_addc_co_u32_e32 v1, vcc, v42, v37, vcc
	v_addc_co_u32_e32 v17, vcc, 0, v17, vcc
	v_add_co_u32_e32 v1, vcc, v1, v16
	v_addc_co_u32_e32 v16, vcc, 0, v17, vcc
	v_mul_lo_u32 v25, s49, v1
	v_mul_lo_u32 v36, s48, v16
	v_mad_u64_u32 v[16:17], s[2:3], s48, v1, 0
	v_add3_u32 v1, v17, v36, v25
	v_sub_u32_e32 v17, v39, v1
	v_mov_b32_e32 v25, s49
	v_sub_co_u32_e32 v16, vcc, v40, v16
	v_subb_co_u32_e64 v17, s[2:3], v17, v25, vcc
	v_subrev_co_u32_e64 v36, s[2:3], s48, v16
	v_subbrev_co_u32_e64 v37, s[4:5], 0, v17, s[2:3]
	v_cmp_le_u32_e64 s[4:5], s49, v37
	v_cndmask_b32_e64 v40, 0, -1, s[4:5]
	v_cmp_le_u32_e64 s[4:5], s48, v36
	v_subb_co_u32_e64 v17, s[2:3], v17, v25, s[2:3]
	v_cndmask_b32_e64 v41, 0, -1, s[4:5]
	v_cmp_eq_u32_e64 s[4:5], s49, v37
	v_subrev_co_u32_e64 v25, s[2:3], s48, v36
	v_cndmask_b32_e64 v40, v40, v41, s[4:5]
	v_subbrev_co_u32_e64 v17, s[2:3], 0, v17, s[2:3]
	v_subb_co_u32_e32 v1, vcc, v39, v1, vcc
	v_cmp_ne_u32_e64 s[2:3], 0, v40
	v_cmp_le_u32_e32 vcc, s49, v1
	v_cndmask_b32_e64 v17, v37, v17, s[2:3]
	v_cndmask_b32_e64 v37, 0, -1, vcc
	v_cmp_le_u32_e32 vcc, s48, v16
	v_cndmask_b32_e64 v39, 0, -1, vcc
	v_cmp_eq_u32_e32 vcc, s49, v1
	v_cndmask_b32_e32 v37, v37, v39, vcc
	v_cmp_ne_u32_e32 vcc, 0, v37
	v_cndmask_b32_e32 v1, v1, v17, vcc
	v_cndmask_b32_e64 v17, v36, v25, s[2:3]
	v_cndmask_b32_e32 v16, v16, v17, vcc
	v_xor_b32_e32 v16, v16, v38
	v_xor_b32_e32 v1, v1, v38
	v_sub_co_u32_e32 v16, vcc, v16, v38
	v_subb_co_u32_e32 v17, vcc, v1, v38, vcc
                                        ; implicit-def: $vgpr36_vgpr37
.LBB24_43:                              ;   in Loop: Header=BB24_11 Depth=1
	s_andn2_saveexec_b64 s[2:3], s[6:7]
	s_cbranch_execz .LBB24_45
; %bb.44:                               ;   in Loop: Header=BB24_11 Depth=1
	v_cvt_f32_u32_e32 v1, s22
	s_sub_i32 s4, 0, s22
	v_mov_b32_e32 v17, v24
	v_rcp_iflag_f32_e32 v1, v1
	v_mul_f32_e32 v1, 0x4f7ffffe, v1
	v_cvt_u32_f32_e32 v1, v1
	v_mul_lo_u32 v16, s4, v1
	v_mul_hi_u32 v16, v1, v16
	v_add_u32_e32 v1, v1, v16
	v_mul_hi_u32 v1, v36, v1
	v_mul_lo_u32 v1, v1, s22
	v_sub_u32_e32 v1, v36, v1
	v_subrev_u32_e32 v16, s22, v1
	v_cmp_le_u32_e32 vcc, s22, v1
	v_cndmask_b32_e32 v1, v1, v16, vcc
	v_subrev_u32_e32 v16, s22, v1
	v_cmp_le_u32_e32 vcc, s22, v1
	v_cndmask_b32_e32 v16, v1, v16, vcc
.LBB24_45:                              ;   in Loop: Header=BB24_11 Depth=1
	s_or_b64 exec, exec, s[2:3]
	s_and_b64 vcc, exec, s[0:1]
	s_cbranch_vccnz .LBB24_10
.LBB24_46:                              ;   in Loop: Header=BB24_11 Depth=1
	v_mov_b32_e32 v1, s74
	v_add_co_u32_e32 v18, vcc, s73, v0
	v_addc_co_u32_e32 v19, vcc, 0, v1, vcc
	v_mul_lo_u32 v1, s30, v35
	v_mul_lo_u32 v25, s31, v34
	v_mad_u64_u32 v[36:37], s[0:1], s30, v34, v[18:19]
	v_add3_u32 v37, v25, v37, v1
	v_or_b32_e32 v25, s23, v37
	v_cmp_ne_u64_e32 vcc, 0, v[24:25]
                                        ; kill: def $vgpr18_vgpr19 killed $sgpr0_sgpr1 killed $exec
	s_and_saveexec_b64 s[0:1], vcc
	s_xor_b64 s[4:5], exec, s[0:1]
	s_cbranch_execz .LBB24_48
; %bb.47:                               ;   in Loop: Header=BB24_11 Depth=1
	s_ashr_i32 s0, s23, 31
	s_add_u32 s2, s22, s0
	s_mov_b32 s1, s0
	s_addc_u32 s3, s23, s0
	s_xor_b64 s[6:7], s[2:3], s[0:1]
	v_cvt_f32_u32_e32 v1, s6
	v_cvt_f32_u32_e32 v18, s7
	s_sub_u32 s0, 0, s6
	s_subb_u32 s1, 0, s7
	v_mac_f32_e32 v1, 0x4f800000, v18
	v_rcp_f32_e32 v1, v1
	v_mul_f32_e32 v1, 0x5f7ffffc, v1
	v_mul_f32_e32 v18, 0x2f800000, v1
	v_trunc_f32_e32 v18, v18
	v_mac_f32_e32 v1, 0xcf800000, v18
	v_cvt_u32_f32_e32 v18, v18
	v_cvt_u32_f32_e32 v1, v1
	v_mul_lo_u32 v19, s0, v18
	v_mul_hi_u32 v38, s0, v1
	v_mul_lo_u32 v25, s1, v1
	v_add_u32_e32 v19, v38, v19
	v_mul_lo_u32 v39, s0, v1
	v_add_u32_e32 v19, v19, v25
	v_mul_lo_u32 v38, v1, v19
	v_mul_hi_u32 v40, v1, v39
	v_mul_hi_u32 v25, v1, v19
	v_add_co_u32_e32 v38, vcc, v40, v38
	v_addc_co_u32_e32 v25, vcc, 0, v25, vcc
	v_mul_hi_u32 v41, v18, v39
	v_mul_lo_u32 v39, v18, v39
	v_add_co_u32_e32 v38, vcc, v38, v39
	v_mul_hi_u32 v40, v18, v19
	v_addc_co_u32_e32 v25, vcc, v25, v41, vcc
	v_addc_co_u32_e32 v38, vcc, 0, v40, vcc
	v_mul_lo_u32 v19, v18, v19
	v_add_co_u32_e32 v19, vcc, v25, v19
	v_addc_co_u32_e32 v25, vcc, 0, v38, vcc
	v_add_co_u32_e32 v1, vcc, v1, v19
	v_addc_co_u32_e32 v18, vcc, v18, v25, vcc
	v_mul_lo_u32 v19, s0, v18
	v_mul_hi_u32 v25, s0, v1
	v_add_u32_e32 v19, v25, v19
	v_mul_lo_u32 v25, s1, v1
	v_add_u32_e32 v19, v19, v25
	v_mul_lo_u32 v38, s0, v1
	v_mul_hi_u32 v39, v18, v38
	v_mul_lo_u32 v40, v18, v38
	v_mul_lo_u32 v42, v1, v19
	v_mul_hi_u32 v38, v1, v38
	v_mul_hi_u32 v41, v1, v19
	v_add_co_u32_e32 v38, vcc, v38, v42
	v_addc_co_u32_e32 v41, vcc, 0, v41, vcc
	v_add_co_u32_e32 v38, vcc, v38, v40
	v_mul_hi_u32 v25, v18, v19
	v_addc_co_u32_e32 v38, vcc, v41, v39, vcc
	v_addc_co_u32_e32 v25, vcc, 0, v25, vcc
	v_mul_lo_u32 v19, v18, v19
	v_add_co_u32_e32 v19, vcc, v38, v19
	v_addc_co_u32_e32 v25, vcc, 0, v25, vcc
	v_add_co_u32_e32 v1, vcc, v1, v19
	v_addc_co_u32_e32 v25, vcc, v18, v25, vcc
	v_ashrrev_i32_e32 v38, 31, v37
	v_add_co_u32_e32 v18, vcc, v36, v38
	v_addc_co_u32_e32 v19, vcc, v37, v38, vcc
	v_xor_b32_e32 v40, v18, v38
	v_xor_b32_e32 v39, v19, v38
	v_mad_u64_u32 v[18:19], s[0:1], v40, v25, 0
	v_mul_hi_u32 v36, v40, v1
	v_add_co_u32_e32 v41, vcc, v36, v18
	v_addc_co_u32_e32 v42, vcc, 0, v19, vcc
	v_mad_u64_u32 v[36:37], s[0:1], v39, v1, 0
	v_add_co_u32_e32 v1, vcc, v41, v36
	v_mad_u64_u32 v[18:19], s[0:1], v39, v25, 0
	v_addc_co_u32_e32 v1, vcc, v42, v37, vcc
	v_addc_co_u32_e32 v19, vcc, 0, v19, vcc
	v_add_co_u32_e32 v1, vcc, v1, v18
	v_addc_co_u32_e32 v18, vcc, 0, v19, vcc
	v_mul_lo_u32 v25, s7, v1
	v_mul_lo_u32 v36, s6, v18
	v_mad_u64_u32 v[18:19], s[0:1], s6, v1, 0
	v_add3_u32 v1, v19, v36, v25
	v_sub_u32_e32 v19, v39, v1
	v_mov_b32_e32 v25, s7
	v_sub_co_u32_e32 v18, vcc, v40, v18
	v_subb_co_u32_e64 v19, s[0:1], v19, v25, vcc
	v_subrev_co_u32_e64 v36, s[0:1], s6, v18
	v_subbrev_co_u32_e64 v37, s[2:3], 0, v19, s[0:1]
	v_cmp_le_u32_e64 s[2:3], s7, v37
	v_cndmask_b32_e64 v40, 0, -1, s[2:3]
	v_cmp_le_u32_e64 s[2:3], s6, v36
	v_subb_co_u32_e64 v19, s[0:1], v19, v25, s[0:1]
	v_cndmask_b32_e64 v41, 0, -1, s[2:3]
	v_cmp_eq_u32_e64 s[2:3], s7, v37
	v_subrev_co_u32_e64 v25, s[0:1], s6, v36
	v_cndmask_b32_e64 v40, v40, v41, s[2:3]
	v_subbrev_co_u32_e64 v19, s[0:1], 0, v19, s[0:1]
	v_subb_co_u32_e32 v1, vcc, v39, v1, vcc
	v_cmp_ne_u32_e64 s[0:1], 0, v40
	v_cmp_le_u32_e32 vcc, s7, v1
	v_cndmask_b32_e64 v19, v37, v19, s[0:1]
	v_cndmask_b32_e64 v37, 0, -1, vcc
	v_cmp_le_u32_e32 vcc, s6, v18
	v_cndmask_b32_e64 v39, 0, -1, vcc
	v_cmp_eq_u32_e32 vcc, s7, v1
	v_cndmask_b32_e32 v37, v37, v39, vcc
	v_cmp_ne_u32_e32 vcc, 0, v37
	v_cndmask_b32_e32 v1, v1, v19, vcc
	v_cndmask_b32_e64 v19, v36, v25, s[0:1]
	v_cndmask_b32_e32 v18, v18, v19, vcc
	v_xor_b32_e32 v18, v18, v38
	v_xor_b32_e32 v1, v1, v38
	v_sub_co_u32_e32 v18, vcc, v18, v38
	v_subb_co_u32_e32 v19, vcc, v1, v38, vcc
                                        ; implicit-def: $vgpr36_vgpr37
.LBB24_48:                              ;   in Loop: Header=BB24_11 Depth=1
	s_andn2_saveexec_b64 s[0:1], s[4:5]
	s_cbranch_execz .LBB24_9
; %bb.49:                               ;   in Loop: Header=BB24_11 Depth=1
	v_cvt_f32_u32_e32 v1, s22
	s_sub_i32 s2, 0, s22
	v_mov_b32_e32 v19, v24
	v_rcp_iflag_f32_e32 v1, v1
	v_mul_f32_e32 v1, 0x4f7ffffe, v1
	v_cvt_u32_f32_e32 v1, v1
	v_mul_lo_u32 v18, s2, v1
	v_mul_hi_u32 v18, v1, v18
	v_add_u32_e32 v1, v1, v18
	v_mul_hi_u32 v1, v36, v1
	v_mul_lo_u32 v1, v1, s22
	v_sub_u32_e32 v1, v36, v1
	v_subrev_u32_e32 v18, s22, v1
	v_cmp_le_u32_e32 vcc, s22, v1
	v_cndmask_b32_e32 v1, v1, v18, vcc
	v_subrev_u32_e32 v18, s22, v1
	v_cmp_le_u32_e32 vcc, s22, v1
	v_cndmask_b32_e32 v18, v1, v18, vcc
	s_branch .LBB24_9
.LBB24_50:
	s_or_b64 exec, exec, s[44:45]
	v_mad_u64_u32 v[2:3], s[0:1], v22, s20, v[2:3]
	v_mul_lo_u32 v0, v22, s21
	v_mul_lo_u32 v1, v23, s20
	v_cmp_ne_u64_e32 vcc, v[20:21], v[22:23]
	v_add3_u32 v3, v1, v3, v0
	s_and_b64 s[0:1], vcc, exec
	s_or_saveexec_b64 s[2:3], s[26:27]
	v_pk_mov_b32 v[0:1], s[30:31], s[30:31] op_sel:[0,1]
	s_xor_b64 exec, exec, s[2:3]
	s_cbranch_execz .LBB24_7
.LBB24_51:
	s_sub_u32 s4, 0, s8
	s_subb_u32 s5, 0, s9
	v_pk_mov_b32 v[0:1], s[4:5], s[4:5] op_sel:[0,1]
	s_or_b64 s[0:1], s[0:1], exec
	s_or_b64 exec, exec, s[2:3]
	s_and_b64 exec, exec, s[0:1]
	s_cbranch_execz .LBB24_64
.LBB24_52:
	v_cvt_f32_u32_e32 v4, s8
	s_sub_u32 s30, 0, s18
	v_cndmask_b32_e64 v6, 0, 1, s[24:25]
	s_subb_u32 s31, 0, s19
	v_rcp_iflag_f32_e32 v5, v4
	s_sub_i32 s2, 0, s8
	v_cmp_ne_u32_e64 s[0:1], 1, v6
	s_mov_b64 s[6:7], 0
	v_mul_f32_e32 v5, 0x4f7ffffe, v5
	v_cvt_u32_f32_e32 v5, v5
	v_mov_b32_e32 v4, 0
	s_ashr_i32 s18, s9, 31
	s_ashr_i32 s24, s23, 31
	v_mul_lo_u32 v6, s2, v5
	v_mul_hi_u32 v6, v5, v6
	v_add_u32_e32 v12, v5, v6
	s_branch .LBB24_55
.LBB24_53:                              ;   in Loop: Header=BB24_55 Depth=1
	s_or_b64 exec, exec, s[2:3]
	v_ashrrev_i32_e32 v5, 31, v11
	v_and_b32_e32 v9, s23, v5
	v_and_b32_e32 v5, s22, v5
	v_add_co_u32_e32 v8, vcc, v5, v10
	v_addc_co_u32_e32 v9, vcc, v9, v11, vcc
	v_mov_b32_e32 v5, s23
	v_sub_co_u32_e32 v10, vcc, s22, v8
	v_subb_co_u32_e32 v5, vcc, v5, v9, vcc
	v_cmp_gt_i64_e32 vcc, s[16:17], v[8:9]
	v_cndmask_b32_e32 v9, v5, v9, vcc
	v_cndmask_b32_e32 v8, v10, v8, vcc
.LBB24_54:                              ;   in Loop: Header=BB24_55 Depth=1
	v_pk_mov_b32 v[10:11], s[12:13], s[12:13] op_sel:[0,1]
	v_mad_u64_u32 v[10:11], s[2:3], v6, s16, v[10:11]
	v_mul_lo_u32 v5, v6, s17
	v_mul_lo_u32 v6, v7, s16
	v_add3_u32 v5, v6, v11, v5
	v_add_co_u32_e32 v6, vcc, v10, v8
	v_addc_co_u32_e32 v7, vcc, v5, v9, vcc
	global_load_ubyte v5, v[6:7], off
	v_mov_b32_e32 v7, s15
	v_add_co_u32_e32 v6, vcc, s14, v2
	v_addc_co_u32_e32 v7, vcc, v7, v3, vcc
	v_mov_b32_e32 v8, s21
	v_add_co_u32_e32 v2, vcc, s20, v2
	v_addc_co_u32_e32 v3, vcc, v3, v8, vcc
	v_cmp_le_i64_e32 vcc, s[10:11], v[2:3]
	s_or_b64 s[6:7], vcc, s[6:7]
	s_waitcnt vmcnt(0)
	global_store_byte v[6:7], v5, off
	s_andn2_b64 exec, exec, s[6:7]
	s_cbranch_execz .LBB24_64
.LBB24_55:                              ; =>This Inner Loop Header: Depth=1
	v_or_b32_e32 v5, s9, v3
	v_cmp_ne_u64_e32 vcc, 0, v[4:5]
                                        ; implicit-def: $vgpr6_vgpr7
	s_and_saveexec_b64 s[2:3], vcc
	s_xor_b64 s[4:5], exec, s[2:3]
	s_cbranch_execnz .LBB24_58
; %bb.56:                               ;   in Loop: Header=BB24_55 Depth=1
	s_andn2_saveexec_b64 s[2:3], s[4:5]
	s_cbranch_execnz .LBB24_59
.LBB24_57:                              ;   in Loop: Header=BB24_55 Depth=1
	s_or_b64 exec, exec, s[2:3]
	s_and_b64 vcc, exec, s[0:1]
	v_pk_mov_b32 v[8:9], 0, 0
	s_cbranch_vccnz .LBB24_54
	s_branch .LBB24_60
.LBB24_58:                              ;   in Loop: Header=BB24_55 Depth=1
	s_add_u32 s2, s8, s18
	s_mov_b32 s19, s18
	s_addc_u32 s3, s9, s18
	s_xor_b64 s[26:27], s[2:3], s[18:19]
	v_cvt_f32_u32_e32 v5, s26
	v_cvt_f32_u32_e32 v6, s27
	s_sub_u32 s2, 0, s26
	s_subb_u32 s3, 0, s27
	v_mac_f32_e32 v5, 0x4f800000, v6
	v_rcp_f32_e32 v5, v5
	v_mul_f32_e32 v5, 0x5f7ffffc, v5
	v_mul_f32_e32 v6, 0x2f800000, v5
	v_trunc_f32_e32 v6, v6
	v_mac_f32_e32 v5, 0xcf800000, v6
	v_cvt_u32_f32_e32 v6, v6
	v_cvt_u32_f32_e32 v5, v5
	v_mul_lo_u32 v7, s2, v6
	v_mul_hi_u32 v9, s2, v5
	v_mul_lo_u32 v8, s3, v5
	v_add_u32_e32 v7, v9, v7
	v_mul_lo_u32 v10, s2, v5
	v_add_u32_e32 v7, v7, v8
	v_mul_lo_u32 v9, v5, v7
	v_mul_hi_u32 v11, v5, v10
	v_mul_hi_u32 v8, v5, v7
	v_add_co_u32_e32 v9, vcc, v11, v9
	v_addc_co_u32_e32 v8, vcc, 0, v8, vcc
	v_mul_hi_u32 v13, v6, v10
	v_mul_lo_u32 v10, v6, v10
	v_add_co_u32_e32 v9, vcc, v9, v10
	v_mul_hi_u32 v11, v6, v7
	v_addc_co_u32_e32 v8, vcc, v8, v13, vcc
	v_addc_co_u32_e32 v9, vcc, 0, v11, vcc
	v_mul_lo_u32 v7, v6, v7
	v_add_co_u32_e32 v7, vcc, v8, v7
	v_addc_co_u32_e32 v8, vcc, 0, v9, vcc
	v_add_co_u32_e32 v5, vcc, v5, v7
	v_addc_co_u32_e32 v6, vcc, v6, v8, vcc
	v_mul_lo_u32 v7, s2, v6
	v_mul_hi_u32 v8, s2, v5
	v_add_u32_e32 v7, v8, v7
	v_mul_lo_u32 v8, s3, v5
	v_add_u32_e32 v7, v7, v8
	v_mul_lo_u32 v9, s2, v5
	v_mul_hi_u32 v10, v6, v9
	v_mul_lo_u32 v11, v6, v9
	v_mul_lo_u32 v14, v5, v7
	v_mul_hi_u32 v9, v5, v9
	v_mul_hi_u32 v13, v5, v7
	v_add_co_u32_e32 v9, vcc, v9, v14
	v_addc_co_u32_e32 v13, vcc, 0, v13, vcc
	v_add_co_u32_e32 v9, vcc, v9, v11
	v_mul_hi_u32 v8, v6, v7
	v_addc_co_u32_e32 v9, vcc, v13, v10, vcc
	v_addc_co_u32_e32 v8, vcc, 0, v8, vcc
	v_mul_lo_u32 v7, v6, v7
	v_add_co_u32_e32 v7, vcc, v9, v7
	v_addc_co_u32_e32 v8, vcc, 0, v8, vcc
	v_add_co_u32_e32 v5, vcc, v5, v7
	v_addc_co_u32_e32 v8, vcc, v6, v8, vcc
	v_ashrrev_i32_e32 v10, 31, v3
	v_add_co_u32_e32 v6, vcc, v2, v10
	v_addc_co_u32_e32 v7, vcc, v3, v10, vcc
	v_xor_b32_e32 v13, v6, v10
	v_xor_b32_e32 v11, v7, v10
	v_mad_u64_u32 v[6:7], s[2:3], v13, v8, 0
	v_mul_hi_u32 v9, v13, v5
	v_add_co_u32_e32 v14, vcc, v9, v6
	v_addc_co_u32_e32 v15, vcc, 0, v7, vcc
	v_mad_u64_u32 v[6:7], s[2:3], v11, v8, 0
	v_mad_u64_u32 v[8:9], s[2:3], v11, v5, 0
	v_add_co_u32_e32 v5, vcc, v14, v8
	v_addc_co_u32_e32 v5, vcc, v15, v9, vcc
	v_addc_co_u32_e32 v7, vcc, 0, v7, vcc
	v_add_co_u32_e32 v5, vcc, v5, v6
	v_addc_co_u32_e32 v8, vcc, 0, v7, vcc
	v_mul_lo_u32 v9, s27, v5
	v_mul_lo_u32 v14, s26, v8
	v_mad_u64_u32 v[6:7], s[2:3], s26, v5, 0
	v_add3_u32 v7, v7, v14, v9
	v_sub_u32_e32 v9, v11, v7
	v_mov_b32_e32 v14, s27
	v_sub_co_u32_e32 v6, vcc, v13, v6
	v_subb_co_u32_e64 v9, s[2:3], v9, v14, vcc
	v_subrev_co_u32_e64 v13, s[2:3], s26, v6
	v_subbrev_co_u32_e64 v9, s[2:3], 0, v9, s[2:3]
	v_cmp_le_u32_e64 s[2:3], s27, v9
	v_cndmask_b32_e64 v14, 0, -1, s[2:3]
	v_cmp_le_u32_e64 s[2:3], s26, v13
	v_cndmask_b32_e64 v13, 0, -1, s[2:3]
	v_cmp_eq_u32_e64 s[2:3], s27, v9
	v_cndmask_b32_e64 v9, v14, v13, s[2:3]
	v_add_co_u32_e64 v13, s[2:3], 2, v5
	v_subb_co_u32_e32 v7, vcc, v11, v7, vcc
	v_addc_co_u32_e64 v14, s[2:3], 0, v8, s[2:3]
	v_cmp_le_u32_e32 vcc, s27, v7
	v_add_co_u32_e64 v15, s[2:3], 1, v5
	v_cndmask_b32_e64 v11, 0, -1, vcc
	v_cmp_le_u32_e32 vcc, s26, v6
	v_addc_co_u32_e64 v16, s[2:3], 0, v8, s[2:3]
	v_cndmask_b32_e64 v6, 0, -1, vcc
	v_cmp_eq_u32_e32 vcc, s27, v7
	v_cmp_ne_u32_e64 s[2:3], 0, v9
	v_cndmask_b32_e32 v6, v11, v6, vcc
	v_cmp_ne_u32_e32 vcc, 0, v6
	v_cndmask_b32_e64 v7, v15, v13, s[2:3]
	v_cndmask_b32_e64 v9, v16, v14, s[2:3]
	v_cndmask_b32_e32 v5, v5, v7, vcc
	v_xor_b32_e32 v7, s18, v10
	v_cndmask_b32_e32 v6, v8, v9, vcc
	v_xor_b32_e32 v5, v5, v7
	v_xor_b32_e32 v8, v6, v7
	v_sub_co_u32_e32 v6, vcc, v5, v7
	v_subb_co_u32_e32 v7, vcc, v8, v7, vcc
	s_andn2_saveexec_b64 s[2:3], s[4:5]
	s_cbranch_execz .LBB24_57
.LBB24_59:                              ;   in Loop: Header=BB24_55 Depth=1
	v_mul_hi_u32 v5, v2, v12
	v_mul_lo_u32 v6, v5, s8
	v_sub_u32_e32 v6, v2, v6
	v_subrev_u32_e32 v7, s8, v6
	v_cmp_le_u32_e32 vcc, s8, v6
	v_cndmask_b32_e32 v6, v6, v7, vcc
	v_add_u32_e32 v7, 1, v5
	v_cndmask_b32_e32 v5, v5, v7, vcc
	v_add_u32_e32 v7, 1, v5
	v_cmp_le_u32_e32 vcc, s8, v6
	v_cndmask_b32_e32 v6, v5, v7, vcc
	v_mov_b32_e32 v7, v4
	s_or_b64 exec, exec, s[2:3]
	s_and_b64 vcc, exec, s[0:1]
	v_pk_mov_b32 v[8:9], 0, 0
	s_cbranch_vccnz .LBB24_54
.LBB24_60:                              ;   in Loop: Header=BB24_55 Depth=1
	v_mov_b32_e32 v5, s31
	v_add_co_u32_e32 v8, vcc, s30, v2
	v_addc_co_u32_e32 v9, vcc, v5, v3, vcc
	v_mul_lo_u32 v5, v0, v7
	v_mul_lo_u32 v10, v1, v6
	v_mad_u64_u32 v[8:9], s[2:3], v0, v6, v[8:9]
	v_add3_u32 v9, v10, v9, v5
	v_or_b32_e32 v5, s23, v9
	v_cmp_ne_u64_e32 vcc, 0, v[4:5]
                                        ; implicit-def: $vgpr10_vgpr11
	s_and_saveexec_b64 s[2:3], vcc
	s_xor_b64 s[26:27], exec, s[2:3]
	s_cbranch_execz .LBB24_62
; %bb.61:                               ;   in Loop: Header=BB24_55 Depth=1
	s_add_u32 s2, s22, s24
	s_mov_b32 s25, s24
	s_addc_u32 s3, s23, s24
	s_xor_b64 s[28:29], s[2:3], s[24:25]
	v_cvt_f32_u32_e32 v5, s28
	v_cvt_f32_u32_e32 v10, s29
	s_sub_u32 s2, 0, s28
	s_subb_u32 s3, 0, s29
	v_mac_f32_e32 v5, 0x4f800000, v10
	v_rcp_f32_e32 v5, v5
	v_mul_f32_e32 v5, 0x5f7ffffc, v5
	v_mul_f32_e32 v10, 0x2f800000, v5
	v_trunc_f32_e32 v10, v10
	v_mac_f32_e32 v5, 0xcf800000, v10
	v_cvt_u32_f32_e32 v10, v10
	v_cvt_u32_f32_e32 v5, v5
	v_mul_lo_u32 v11, s2, v10
	v_mul_hi_u32 v14, s2, v5
	v_mul_lo_u32 v13, s3, v5
	v_add_u32_e32 v11, v14, v11
	v_mul_lo_u32 v15, s2, v5
	v_add_u32_e32 v11, v11, v13
	v_mul_lo_u32 v14, v5, v11
	v_mul_hi_u32 v16, v5, v15
	v_mul_hi_u32 v13, v5, v11
	v_add_co_u32_e32 v14, vcc, v16, v14
	v_addc_co_u32_e32 v13, vcc, 0, v13, vcc
	v_mul_hi_u32 v17, v10, v15
	v_mul_lo_u32 v15, v10, v15
	v_add_co_u32_e32 v14, vcc, v14, v15
	v_mul_hi_u32 v16, v10, v11
	v_addc_co_u32_e32 v13, vcc, v13, v17, vcc
	v_addc_co_u32_e32 v14, vcc, 0, v16, vcc
	v_mul_lo_u32 v11, v10, v11
	v_add_co_u32_e32 v11, vcc, v13, v11
	v_addc_co_u32_e32 v13, vcc, 0, v14, vcc
	v_add_co_u32_e32 v5, vcc, v5, v11
	v_addc_co_u32_e32 v10, vcc, v10, v13, vcc
	v_mul_lo_u32 v11, s2, v10
	v_mul_hi_u32 v13, s2, v5
	v_add_u32_e32 v11, v13, v11
	v_mul_lo_u32 v13, s3, v5
	v_add_u32_e32 v11, v11, v13
	v_mul_lo_u32 v14, s2, v5
	v_mul_hi_u32 v15, v10, v14
	v_mul_lo_u32 v16, v10, v14
	v_mul_lo_u32 v18, v5, v11
	v_mul_hi_u32 v14, v5, v14
	v_mul_hi_u32 v17, v5, v11
	v_add_co_u32_e32 v14, vcc, v14, v18
	v_addc_co_u32_e32 v17, vcc, 0, v17, vcc
	v_add_co_u32_e32 v14, vcc, v14, v16
	v_mul_hi_u32 v13, v10, v11
	v_addc_co_u32_e32 v14, vcc, v17, v15, vcc
	v_addc_co_u32_e32 v13, vcc, 0, v13, vcc
	v_mul_lo_u32 v11, v10, v11
	v_add_co_u32_e32 v11, vcc, v14, v11
	v_addc_co_u32_e32 v13, vcc, 0, v13, vcc
	v_add_co_u32_e32 v5, vcc, v5, v11
	v_addc_co_u32_e32 v10, vcc, v10, v13, vcc
	v_ashrrev_i32_e32 v13, 31, v9
	v_add_co_u32_e32 v8, vcc, v8, v13
	v_addc_co_u32_e32 v9, vcc, v9, v13, vcc
	v_xor_b32_e32 v15, v8, v13
	v_xor_b32_e32 v14, v9, v13
	v_mad_u64_u32 v[8:9], s[2:3], v15, v10, 0
	v_mul_hi_u32 v11, v15, v5
	v_add_co_u32_e32 v16, vcc, v11, v8
	v_addc_co_u32_e32 v17, vcc, 0, v9, vcc
	v_mad_u64_u32 v[8:9], s[2:3], v14, v10, 0
	v_mad_u64_u32 v[10:11], s[2:3], v14, v5, 0
	v_add_co_u32_e32 v5, vcc, v16, v10
	v_addc_co_u32_e32 v5, vcc, v17, v11, vcc
	v_addc_co_u32_e32 v9, vcc, 0, v9, vcc
	v_add_co_u32_e32 v5, vcc, v5, v8
	v_addc_co_u32_e32 v8, vcc, 0, v9, vcc
	v_mul_lo_u32 v10, s29, v5
	v_mul_lo_u32 v11, s28, v8
	v_mad_u64_u32 v[8:9], s[2:3], s28, v5, 0
	v_add3_u32 v5, v9, v11, v10
	v_sub_u32_e32 v9, v14, v5
	v_mov_b32_e32 v10, s29
	v_sub_co_u32_e32 v8, vcc, v15, v8
	v_subb_co_u32_e64 v9, s[2:3], v9, v10, vcc
	v_subrev_co_u32_e64 v11, s[2:3], s28, v8
	v_subbrev_co_u32_e64 v15, s[4:5], 0, v9, s[2:3]
	v_cmp_le_u32_e64 s[4:5], s29, v15
	v_cndmask_b32_e64 v16, 0, -1, s[4:5]
	v_cmp_le_u32_e64 s[4:5], s28, v11
	v_subb_co_u32_e64 v9, s[2:3], v9, v10, s[2:3]
	v_cndmask_b32_e64 v17, 0, -1, s[4:5]
	v_cmp_eq_u32_e64 s[4:5], s29, v15
	v_subrev_co_u32_e64 v10, s[2:3], s28, v11
	v_subb_co_u32_e32 v5, vcc, v14, v5, vcc
	v_cndmask_b32_e64 v16, v16, v17, s[4:5]
	v_subbrev_co_u32_e64 v9, s[2:3], 0, v9, s[2:3]
	v_cmp_le_u32_e32 vcc, s29, v5
	v_cmp_ne_u32_e64 s[2:3], 0, v16
	v_cndmask_b32_e64 v14, 0, -1, vcc
	v_cmp_le_u32_e32 vcc, s28, v8
	v_cndmask_b32_e64 v9, v15, v9, s[2:3]
	v_cndmask_b32_e64 v15, 0, -1, vcc
	v_cmp_eq_u32_e32 vcc, s29, v5
	v_cndmask_b32_e32 v14, v14, v15, vcc
	v_cmp_ne_u32_e32 vcc, 0, v14
	v_cndmask_b32_e32 v5, v5, v9, vcc
	v_cndmask_b32_e64 v9, v11, v10, s[2:3]
	v_cndmask_b32_e32 v8, v8, v9, vcc
	v_xor_b32_e32 v8, v8, v13
	v_xor_b32_e32 v5, v5, v13
	v_sub_co_u32_e32 v10, vcc, v8, v13
	v_subb_co_u32_e32 v11, vcc, v5, v13, vcc
                                        ; implicit-def: $vgpr8_vgpr9
.LBB24_62:                              ;   in Loop: Header=BB24_55 Depth=1
	s_andn2_saveexec_b64 s[2:3], s[26:27]
	s_cbranch_execz .LBB24_53
; %bb.63:                               ;   in Loop: Header=BB24_55 Depth=1
	v_cvt_f32_u32_e32 v5, s22
	s_sub_i32 s4, 0, s22
	v_mov_b32_e32 v11, v4
	v_rcp_iflag_f32_e32 v5, v5
	v_mul_f32_e32 v5, 0x4f7ffffe, v5
	v_cvt_u32_f32_e32 v5, v5
	v_mul_lo_u32 v9, s4, v5
	v_mul_hi_u32 v9, v5, v9
	v_add_u32_e32 v5, v5, v9
	v_mul_hi_u32 v5, v8, v5
	v_mul_lo_u32 v5, v5, s22
	v_sub_u32_e32 v5, v8, v5
	v_subrev_u32_e32 v8, s22, v5
	v_cmp_le_u32_e32 vcc, s22, v5
	v_cndmask_b32_e32 v5, v5, v8, vcc
	v_subrev_u32_e32 v8, s22, v5
	v_cmp_le_u32_e32 vcc, s22, v5
	v_cndmask_b32_e32 v10, v5, v8, vcc
	s_branch .LBB24_53
.LBB24_64:
	s_endpgm
	.section	.rodata,"a",@progbits
	.p2align	6, 0x0
	.amdhsa_kernel _ZN2at6native12_GLOBAL__N_121reflection_pad1d_flatIhEEvPKT_PS3_lllll
		.amdhsa_group_segment_fixed_size 0
		.amdhsa_private_segment_fixed_size 0
		.amdhsa_kernarg_size 312
		.amdhsa_user_sgpr_count 6
		.amdhsa_user_sgpr_private_segment_buffer 1
		.amdhsa_user_sgpr_dispatch_ptr 0
		.amdhsa_user_sgpr_queue_ptr 0
		.amdhsa_user_sgpr_kernarg_segment_ptr 1
		.amdhsa_user_sgpr_dispatch_id 0
		.amdhsa_user_sgpr_flat_scratch_init 0
		.amdhsa_user_sgpr_kernarg_preload_length 0
		.amdhsa_user_sgpr_kernarg_preload_offset 0
		.amdhsa_user_sgpr_private_segment_size 0
		.amdhsa_uses_dynamic_stack 0
		.amdhsa_system_sgpr_private_segment_wavefront_offset 0
		.amdhsa_system_sgpr_workgroup_id_x 1
		.amdhsa_system_sgpr_workgroup_id_y 0
		.amdhsa_system_sgpr_workgroup_id_z 0
		.amdhsa_system_sgpr_workgroup_info 0
		.amdhsa_system_vgpr_workitem_id 0
		.amdhsa_next_free_vgpr 43
		.amdhsa_next_free_sgpr 77
		.amdhsa_accum_offset 44
		.amdhsa_reserve_vcc 1
		.amdhsa_reserve_flat_scratch 0
		.amdhsa_float_round_mode_32 0
		.amdhsa_float_round_mode_16_64 0
		.amdhsa_float_denorm_mode_32 3
		.amdhsa_float_denorm_mode_16_64 3
		.amdhsa_dx10_clamp 1
		.amdhsa_ieee_mode 1
		.amdhsa_fp16_overflow 0
		.amdhsa_tg_split 0
		.amdhsa_exception_fp_ieee_invalid_op 0
		.amdhsa_exception_fp_denorm_src 0
		.amdhsa_exception_fp_ieee_div_zero 0
		.amdhsa_exception_fp_ieee_overflow 0
		.amdhsa_exception_fp_ieee_underflow 0
		.amdhsa_exception_fp_ieee_inexact 0
		.amdhsa_exception_int_div_zero 0
	.end_amdhsa_kernel
	.section	.text._ZN2at6native12_GLOBAL__N_121reflection_pad1d_flatIhEEvPKT_PS3_lllll,"axG",@progbits,_ZN2at6native12_GLOBAL__N_121reflection_pad1d_flatIhEEvPKT_PS3_lllll,comdat
.Lfunc_end24:
	.size	_ZN2at6native12_GLOBAL__N_121reflection_pad1d_flatIhEEvPKT_PS3_lllll, .Lfunc_end24-_ZN2at6native12_GLOBAL__N_121reflection_pad1d_flatIhEEvPKT_PS3_lllll
                                        ; -- End function
	.section	.AMDGPU.csdata,"",@progbits
; Kernel info:
; codeLenInByte = 10604
; NumSgprs: 81
; NumVgprs: 43
; NumAgprs: 0
; TotalNumVgprs: 43
; ScratchSize: 0
; MemoryBound: 0
; FloatMode: 240
; IeeeMode: 1
; LDSByteSize: 0 bytes/workgroup (compile time only)
; SGPRBlocks: 10
; VGPRBlocks: 5
; NumSGPRsForWavesPerEU: 81
; NumVGPRsForWavesPerEU: 43
; AccumOffset: 44
; Occupancy: 8
; WaveLimiterHint : 0
; COMPUTE_PGM_RSRC2:SCRATCH_EN: 0
; COMPUTE_PGM_RSRC2:USER_SGPR: 6
; COMPUTE_PGM_RSRC2:TRAP_HANDLER: 0
; COMPUTE_PGM_RSRC2:TGID_X_EN: 1
; COMPUTE_PGM_RSRC2:TGID_Y_EN: 0
; COMPUTE_PGM_RSRC2:TGID_Z_EN: 0
; COMPUTE_PGM_RSRC2:TIDIG_COMP_CNT: 0
; COMPUTE_PGM_RSRC3_GFX90A:ACCUM_OFFSET: 10
; COMPUTE_PGM_RSRC3_GFX90A:TG_SPLIT: 0
	.section	.text._ZN2at6native12_GLOBAL__N_127reflection_pad1d_out_kernelIaEEvPKT_PS3_lll,"axG",@progbits,_ZN2at6native12_GLOBAL__N_127reflection_pad1d_out_kernelIaEEvPKT_PS3_lll,comdat
	.globl	_ZN2at6native12_GLOBAL__N_127reflection_pad1d_out_kernelIaEEvPKT_PS3_lll ; -- Begin function _ZN2at6native12_GLOBAL__N_127reflection_pad1d_out_kernelIaEEvPKT_PS3_lll
	.p2align	8
	.type	_ZN2at6native12_GLOBAL__N_127reflection_pad1d_out_kernelIaEEvPKT_PS3_lll,@function
_ZN2at6native12_GLOBAL__N_127reflection_pad1d_out_kernelIaEEvPKT_PS3_lll: ; @_ZN2at6native12_GLOBAL__N_127reflection_pad1d_out_kernelIaEEvPKT_PS3_lll
; %bb.0:
	s_load_dword s9, s[4:5], 0x34
	s_load_dwordx2 s[0:1], s[4:5], 0x20
	s_load_dwordx8 s[12:19], s[4:5], 0x0
	s_add_u32 s2, s4, 40
	s_addc_u32 s3, s5, 0
	s_waitcnt lgkmcnt(0)
	s_and_b32 s4, s9, 0xffff
	v_mov_b32_e32 v1, 0
	v_mov_b32_e32 v2, s6
	v_mad_u64_u32 v[0:1], s[4:5], s4, v2, v[0:1]
	s_add_u32 s4, s18, s16
	s_addc_u32 s5, s19, s17
	s_add_u32 s0, s4, s0
	s_addc_u32 s1, s5, s1
	v_cmp_gt_i64_e32 vcc, s[0:1], v[0:1]
	s_and_saveexec_b64 s[10:11], vcc
	s_cbranch_execz .LBB25_2
; %bb.1:
	s_load_dword s6, s[2:3], 0x4
	v_mov_b32_e32 v2, s19
	v_subrev_co_u32_e32 v3, vcc, s18, v0
	s_sub_u32 s2, 0, s18
	s_waitcnt lgkmcnt(0)
	s_mul_i32 s6, s6, s8
	v_subb_co_u32_e32 v2, vcc, v1, v2, vcc
	s_subb_u32 s3, 0, s19
	s_add_i32 s8, s6, s7
	v_ashrrev_i32_e32 v4, 31, v2
	s_mul_i32 s1, s1, s8
	s_mul_hi_u32 s6, s0, s8
	v_xor_b32_e32 v3, v3, v4
	v_cmp_gt_i64_e64 s[10:11], s[2:3], 0
	s_add_i32 s1, s6, s1
	v_xor_b32_e32 v2, v2, v4
	v_sub_co_u32_e32 v3, vcc, v3, v4
	s_and_b64 s[6:7], s[10:11], exec
	v_subb_co_u32_e32 v4, vcc, v2, v4, vcc
	s_cselect_b32 s6, s3, 0
	s_cselect_b32 s7, s2, 0
	v_cmp_gt_i64_e64 s[2:3], s[18:19], 0
	v_mov_b32_e32 v2, s5
	v_subrev_co_u32_e32 v5, vcc, s4, v0
	s_and_b64 s[2:3], s[2:3], exec
	v_subb_co_u32_e32 v2, vcc, v1, v2, vcc
	s_cselect_b32 s3, s19, 0
	s_cselect_b32 s2, s18, 0
	v_add_co_u32_e32 v5, vcc, 1, v5
	v_addc_co_u32_e32 v2, vcc, 0, v2, vcc
	s_not_b64 s[2:3], s[2:3]
	v_ashrrev_i32_e32 v6, 31, v2
	s_add_u32 s4, s4, s18
	v_xor_b32_e32 v5, v5, v6
	s_addc_u32 s5, s5, s19
	v_xor_b32_e32 v2, v2, v6
	v_sub_co_u32_e32 v5, vcc, v5, v6
	s_add_u32 s2, s4, s2
	v_subb_co_u32_e32 v2, vcc, v2, v6, vcc
	s_addc_u32 s3, s5, s3
	s_add_u32 s2, s2, s7
	v_add_co_u32_e32 v5, vcc, v0, v5
	s_addc_u32 s3, s3, s6
	v_addc_co_u32_e32 v2, vcc, v1, v2, vcc
	v_mov_b32_e32 v6, s3
	v_sub_co_u32_e32 v5, vcc, s2, v5
	v_subb_co_u32_e32 v2, vcc, v6, v2, vcc
	v_mov_b32_e32 v6, s13
	v_add_co_u32_e32 v5, vcc, s12, v5
	v_addc_co_u32_e32 v6, vcc, v6, v2, vcc
	v_add_co_u32_e32 v2, vcc, v5, v3
	v_addc_co_u32_e32 v3, vcc, v6, v4, vcc
	v_mov_b32_e32 v4, s16
	v_mad_u64_u32 v[2:3], s[2:3], s8, v4, v[2:3]
	s_mul_i32 s2, s8, s17
	v_add_u32_e32 v3, s2, v3
	global_load_ubyte v2, v[2:3], off
	s_mul_i32 s0, s0, s8
	s_add_u32 s0, s14, s0
	s_addc_u32 s1, s15, s1
	v_mov_b32_e32 v3, s1
	v_add_co_u32_e32 v0, vcc, s0, v0
	v_addc_co_u32_e32 v1, vcc, v3, v1, vcc
	s_waitcnt vmcnt(0)
	global_store_byte v[0:1], v2, off
.LBB25_2:
	s_endpgm
	.section	.rodata,"a",@progbits
	.p2align	6, 0x0
	.amdhsa_kernel _ZN2at6native12_GLOBAL__N_127reflection_pad1d_out_kernelIaEEvPKT_PS3_lll
		.amdhsa_group_segment_fixed_size 0
		.amdhsa_private_segment_fixed_size 0
		.amdhsa_kernarg_size 296
		.amdhsa_user_sgpr_count 6
		.amdhsa_user_sgpr_private_segment_buffer 1
		.amdhsa_user_sgpr_dispatch_ptr 0
		.amdhsa_user_sgpr_queue_ptr 0
		.amdhsa_user_sgpr_kernarg_segment_ptr 1
		.amdhsa_user_sgpr_dispatch_id 0
		.amdhsa_user_sgpr_flat_scratch_init 0
		.amdhsa_user_sgpr_kernarg_preload_length 0
		.amdhsa_user_sgpr_kernarg_preload_offset 0
		.amdhsa_user_sgpr_private_segment_size 0
		.amdhsa_uses_dynamic_stack 0
		.amdhsa_system_sgpr_private_segment_wavefront_offset 0
		.amdhsa_system_sgpr_workgroup_id_x 1
		.amdhsa_system_sgpr_workgroup_id_y 1
		.amdhsa_system_sgpr_workgroup_id_z 1
		.amdhsa_system_sgpr_workgroup_info 0
		.amdhsa_system_vgpr_workitem_id 0
		.amdhsa_next_free_vgpr 7
		.amdhsa_next_free_sgpr 20
		.amdhsa_accum_offset 8
		.amdhsa_reserve_vcc 1
		.amdhsa_reserve_flat_scratch 0
		.amdhsa_float_round_mode_32 0
		.amdhsa_float_round_mode_16_64 0
		.amdhsa_float_denorm_mode_32 3
		.amdhsa_float_denorm_mode_16_64 3
		.amdhsa_dx10_clamp 1
		.amdhsa_ieee_mode 1
		.amdhsa_fp16_overflow 0
		.amdhsa_tg_split 0
		.amdhsa_exception_fp_ieee_invalid_op 0
		.amdhsa_exception_fp_denorm_src 0
		.amdhsa_exception_fp_ieee_div_zero 0
		.amdhsa_exception_fp_ieee_overflow 0
		.amdhsa_exception_fp_ieee_underflow 0
		.amdhsa_exception_fp_ieee_inexact 0
		.amdhsa_exception_int_div_zero 0
	.end_amdhsa_kernel
	.section	.text._ZN2at6native12_GLOBAL__N_127reflection_pad1d_out_kernelIaEEvPKT_PS3_lll,"axG",@progbits,_ZN2at6native12_GLOBAL__N_127reflection_pad1d_out_kernelIaEEvPKT_PS3_lll,comdat
.Lfunc_end25:
	.size	_ZN2at6native12_GLOBAL__N_127reflection_pad1d_out_kernelIaEEvPKT_PS3_lll, .Lfunc_end25-_ZN2at6native12_GLOBAL__N_127reflection_pad1d_out_kernelIaEEvPKT_PS3_lll
                                        ; -- End function
	.section	.AMDGPU.csdata,"",@progbits
; Kernel info:
; codeLenInByte = 376
; NumSgprs: 24
; NumVgprs: 7
; NumAgprs: 0
; TotalNumVgprs: 7
; ScratchSize: 0
; MemoryBound: 0
; FloatMode: 240
; IeeeMode: 1
; LDSByteSize: 0 bytes/workgroup (compile time only)
; SGPRBlocks: 2
; VGPRBlocks: 0
; NumSGPRsForWavesPerEU: 24
; NumVGPRsForWavesPerEU: 7
; AccumOffset: 8
; Occupancy: 8
; WaveLimiterHint : 0
; COMPUTE_PGM_RSRC2:SCRATCH_EN: 0
; COMPUTE_PGM_RSRC2:USER_SGPR: 6
; COMPUTE_PGM_RSRC2:TRAP_HANDLER: 0
; COMPUTE_PGM_RSRC2:TGID_X_EN: 1
; COMPUTE_PGM_RSRC2:TGID_Y_EN: 1
; COMPUTE_PGM_RSRC2:TGID_Z_EN: 1
; COMPUTE_PGM_RSRC2:TIDIG_COMP_CNT: 0
; COMPUTE_PGM_RSRC3_GFX90A:ACCUM_OFFSET: 1
; COMPUTE_PGM_RSRC3_GFX90A:TG_SPLIT: 0
	.section	.text._ZN2at6native12_GLOBAL__N_121reflection_pad1d_flatIaEEvPKT_PS3_lllll,"axG",@progbits,_ZN2at6native12_GLOBAL__N_121reflection_pad1d_flatIaEEvPKT_PS3_lllll,comdat
	.globl	_ZN2at6native12_GLOBAL__N_121reflection_pad1d_flatIaEEvPKT_PS3_lllll ; -- Begin function _ZN2at6native12_GLOBAL__N_121reflection_pad1d_flatIaEEvPKT_PS3_lllll
	.p2align	8
	.type	_ZN2at6native12_GLOBAL__N_121reflection_pad1d_flatIaEEvPKT_PS3_lllll,@function
_ZN2at6native12_GLOBAL__N_121reflection_pad1d_flatIaEEvPKT_PS3_lllll: ; @_ZN2at6native12_GLOBAL__N_121reflection_pad1d_flatIaEEvPKT_PS3_lllll
; %bb.0:
	s_load_dword s2, s[4:5], 0x44
	s_load_dwordx4 s[8:11], s[4:5], 0x28
	s_add_u32 s0, s4, 56
	s_addc_u32 s1, s5, 0
	v_mov_b32_e32 v1, 0
	s_waitcnt lgkmcnt(0)
	s_and_b32 s7, s2, 0xffff
	s_mul_i32 s2, s10, s9
	s_mul_hi_u32 s12, s10, s8
	s_add_i32 s2, s12, s2
	s_mul_i32 s11, s11, s8
	v_mov_b32_e32 v2, s6
	s_add_i32 s11, s2, s11
	s_mul_i32 s10, s10, s8
	v_mad_u64_u32 v[2:3], s[12:13], s7, v2, v[0:1]
	s_mov_b32 s3, 0
	v_cmp_gt_i64_e32 vcc, s[10:11], v[2:3]
	s_and_saveexec_b64 s[12:13], vcc
	s_cbranch_execz .LBB26_64
; %bb.1:
	s_load_dword s2, s[0:1], 0x0
	v_mov_b32_e32 v4, s7
	s_waitcnt lgkmcnt(0)
	s_add_u32 s33, s6, s2
	s_addc_u32 s34, 0, 0
	s_mul_i32 s34, s34, s7
	v_mad_u64_u32 v[6:7], s[0:1], s33, v4, v[0:1]
	v_add_u32_e32 v7, s34, v7
	v_mov_b32_e32 v4, s11
	v_cmp_gt_i64_e32 vcc, s[10:11], v[6:7]
	v_cndmask_b32_e32 v8, v7, v4, vcc
	v_mov_b32_e32 v4, s10
	v_cndmask_b32_e32 v5, v6, v4, vcc
	v_cndmask_b32_e64 v4, 0, 1, vcc
	v_add_co_u32_e32 v6, vcc, v6, v4
	v_addc_co_u32_e32 v7, vcc, 0, v7, vcc
	v_sub_co_u32_e32 v5, vcc, v5, v6
	s_mul_hi_u32 s21, s7, s2
	v_subb_co_u32_e32 v8, vcc, v8, v7, vcc
	v_or_b32_e32 v7, s21, v8
	v_mov_b32_e32 v6, v1
	s_mul_i32 s20, s7, s2
	v_cmp_ne_u64_e32 vcc, 0, v[6:7]
                                        ; implicit-def: $vgpr6_vgpr7
	s_and_saveexec_b64 s[0:1], vcc
	s_xor_b64 s[12:13], exec, s[0:1]
	s_cbranch_execz .LBB26_3
; %bb.2:
	v_cvt_f32_u32_e32 v1, s20
	v_cvt_f32_u32_e32 v6, s21
	s_sub_u32 s0, 0, s20
	s_subb_u32 s1, 0, s21
	v_madmk_f32 v1, v6, 0x4f800000, v1
	v_rcp_f32_e32 v1, v1
	v_mul_f32_e32 v1, 0x5f7ffffc, v1
	v_mul_f32_e32 v6, 0x2f800000, v1
	v_trunc_f32_e32 v6, v6
	v_madmk_f32 v1, v6, 0xcf800000, v1
	v_cvt_u32_f32_e32 v6, v6
	v_cvt_u32_f32_e32 v1, v1
	v_mul_lo_u32 v7, s0, v6
	v_mul_hi_u32 v10, s0, v1
	v_mul_lo_u32 v9, s1, v1
	v_add_u32_e32 v7, v10, v7
	v_mul_lo_u32 v11, s0, v1
	v_add_u32_e32 v7, v7, v9
	v_mul_hi_u32 v10, v1, v11
	v_mul_lo_u32 v12, v1, v7
	v_mul_hi_u32 v9, v1, v7
	v_add_co_u32_e32 v10, vcc, v10, v12
	v_addc_co_u32_e32 v9, vcc, 0, v9, vcc
	v_mul_hi_u32 v13, v6, v11
	v_mul_lo_u32 v11, v6, v11
	v_add_co_u32_e32 v10, vcc, v10, v11
	v_mul_hi_u32 v12, v6, v7
	v_addc_co_u32_e32 v9, vcc, v9, v13, vcc
	v_addc_co_u32_e32 v10, vcc, 0, v12, vcc
	v_mul_lo_u32 v7, v6, v7
	v_add_co_u32_e32 v7, vcc, v9, v7
	v_addc_co_u32_e32 v9, vcc, 0, v10, vcc
	v_add_co_u32_e32 v1, vcc, v1, v7
	v_addc_co_u32_e32 v6, vcc, v6, v9, vcc
	v_mul_lo_u32 v7, s0, v6
	v_mul_hi_u32 v9, s0, v1
	v_add_u32_e32 v7, v9, v7
	v_mul_lo_u32 v9, s1, v1
	v_add_u32_e32 v7, v7, v9
	v_mul_lo_u32 v10, s0, v1
	v_mul_hi_u32 v11, v6, v10
	v_mul_lo_u32 v12, v6, v10
	v_mul_lo_u32 v14, v1, v7
	v_mul_hi_u32 v10, v1, v10
	v_mul_hi_u32 v13, v1, v7
	v_add_co_u32_e32 v10, vcc, v10, v14
	v_addc_co_u32_e32 v13, vcc, 0, v13, vcc
	v_add_co_u32_e32 v10, vcc, v10, v12
	v_mul_hi_u32 v9, v6, v7
	v_addc_co_u32_e32 v10, vcc, v13, v11, vcc
	v_addc_co_u32_e32 v9, vcc, 0, v9, vcc
	v_mul_lo_u32 v7, v6, v7
	v_add_co_u32_e32 v7, vcc, v10, v7
	v_addc_co_u32_e32 v9, vcc, 0, v9, vcc
	v_add_co_u32_e32 v1, vcc, v1, v7
	v_addc_co_u32_e32 v9, vcc, v6, v9, vcc
	v_mad_u64_u32 v[6:7], s[0:1], v5, v9, 0
	v_mul_hi_u32 v10, v5, v1
	v_add_co_u32_e32 v12, vcc, v10, v6
	v_addc_co_u32_e32 v13, vcc, 0, v7, vcc
	v_mad_u64_u32 v[10:11], s[0:1], v8, v1, 0
	v_add_co_u32_e32 v1, vcc, v12, v10
	v_mad_u64_u32 v[6:7], s[0:1], v8, v9, 0
	v_addc_co_u32_e32 v1, vcc, v13, v11, vcc
	v_addc_co_u32_e32 v7, vcc, 0, v7, vcc
	v_add_co_u32_e32 v1, vcc, v1, v6
	v_addc_co_u32_e32 v9, vcc, 0, v7, vcc
	v_mul_lo_u32 v10, s21, v1
	v_mul_lo_u32 v11, s20, v9
	v_mad_u64_u32 v[6:7], s[0:1], s20, v1, 0
	v_add3_u32 v7, v7, v11, v10
	v_sub_u32_e32 v10, v8, v7
	v_mov_b32_e32 v11, s21
	v_sub_co_u32_e32 v5, vcc, v5, v6
	v_subb_co_u32_e64 v6, s[0:1], v10, v11, vcc
	v_subrev_co_u32_e64 v10, s[0:1], s20, v5
	v_subbrev_co_u32_e64 v6, s[0:1], 0, v6, s[0:1]
	v_cmp_le_u32_e64 s[0:1], s21, v6
	v_cndmask_b32_e64 v11, 0, -1, s[0:1]
	v_cmp_le_u32_e64 s[0:1], s20, v10
	v_cndmask_b32_e64 v10, 0, -1, s[0:1]
	v_cmp_eq_u32_e64 s[0:1], s21, v6
	v_cndmask_b32_e64 v6, v11, v10, s[0:1]
	v_add_co_u32_e64 v10, s[0:1], 2, v1
	v_subb_co_u32_e32 v7, vcc, v8, v7, vcc
	v_addc_co_u32_e64 v11, s[0:1], 0, v9, s[0:1]
	v_cmp_le_u32_e32 vcc, s21, v7
	v_add_co_u32_e64 v12, s[0:1], 1, v1
	v_cndmask_b32_e64 v8, 0, -1, vcc
	v_cmp_le_u32_e32 vcc, s20, v5
	v_addc_co_u32_e64 v13, s[0:1], 0, v9, s[0:1]
	v_cndmask_b32_e64 v5, 0, -1, vcc
	v_cmp_eq_u32_e32 vcc, s21, v7
	v_cmp_ne_u32_e64 s[0:1], 0, v6
	v_cndmask_b32_e32 v5, v8, v5, vcc
	v_cndmask_b32_e64 v6, v13, v11, s[0:1]
	v_cmp_ne_u32_e32 vcc, 0, v5
	v_cndmask_b32_e64 v5, v12, v10, s[0:1]
	v_cndmask_b32_e32 v7, v9, v6, vcc
	v_cndmask_b32_e32 v6, v1, v5, vcc
                                        ; implicit-def: $vgpr5
.LBB26_3:
	s_or_saveexec_b64 s[0:1], s[12:13]
	s_load_dwordx4 s[12:15], s[4:5], 0x0
	s_xor_b64 exec, exec, s[0:1]
	s_cbranch_execz .LBB26_5
; %bb.4:
	v_cvt_f32_u32_e32 v1, s20
	s_sub_i32 s16, 0, s20
	v_rcp_iflag_f32_e32 v1, v1
	v_mul_f32_e32 v1, 0x4f7ffffe, v1
	v_cvt_u32_f32_e32 v1, v1
	v_mul_lo_u32 v6, s16, v1
	v_mul_hi_u32 v6, v1, v6
	v_add_u32_e32 v1, v1, v6
	v_mul_hi_u32 v1, v5, v1
	v_mul_lo_u32 v6, v1, s20
	v_sub_u32_e32 v5, v5, v6
	v_add_u32_e32 v7, 1, v1
	v_subrev_u32_e32 v6, s20, v5
	v_cmp_le_u32_e32 vcc, s20, v5
	v_cndmask_b32_e32 v5, v5, v6, vcc
	v_cndmask_b32_e32 v1, v1, v7, vcc
	v_add_u32_e32 v6, 1, v1
	v_cmp_le_u32_e32 vcc, s20, v5
	v_cndmask_b32_e32 v6, v1, v6, vcc
	v_mov_b32_e32 v7, 0
.LBB26_5:
	s_or_b64 exec, exec, s[0:1]
	s_load_dwordx4 s[16:19], s[4:5], 0x10
	v_add_co_u32_e32 v1, vcc, v6, v4
	v_addc_co_u32_e32 v4, vcc, 0, v7, vcc
	s_waitcnt lgkmcnt(0)
	s_lshl_b64 s[4:5], s[16:17], 1
	s_add_u32 s22, s4, -2
	v_add_co_u32_e32 v20, vcc, 1, v1
	s_addc_u32 s23, s5, -1
	v_addc_co_u32_e32 v21, vcc, 0, v4, vcc
	s_mov_b64 s[0:1], 0
	v_cmp_lt_i64_e64 s[28:29], s[22:23], 1
	v_cmp_gt_i64_e64 s[24:25], s[22:23], 0
	v_cmp_lt_u64_e32 vcc, 3, v[20:21]
                                        ; kill: def $vgpr4_vgpr5 killed $sgpr0_sgpr1 killed $exec
                                        ; implicit-def: $sgpr30_sgpr31
	s_and_saveexec_b64 s[4:5], vcc
	s_xor_b64 s[26:27], exec, s[4:5]
	s_cbranch_execnz .LBB26_8
; %bb.6:
	s_or_saveexec_b64 s[2:3], s[26:27]
	v_pk_mov_b32 v[0:1], s[30:31], s[30:31] op_sel:[0,1]
	s_xor_b64 exec, exec, s[2:3]
	s_cbranch_execnz .LBB26_51
.LBB26_7:
	s_or_b64 exec, exec, s[2:3]
	s_and_b64 exec, exec, s[0:1]
	s_cbranch_execnz .LBB26_52
	s_branch .LBB26_64
.LBB26_8:
	s_mul_hi_u32 s0, s33, s7
	s_add_i32 s48, s0, s34
	s_lshl_b64 s[34:35], s[20:21], 2
	s_xor_b64 s[46:47], s[28:29], -1
	v_mad_u64_u32 v[8:9], s[0:1], s20, 3, v[2:3]
	s_sub_u32 s30, 0, s8
	s_mul_i32 s5, s7, s6
	v_mov_b32_e32 v10, v9
	s_subb_u32 s31, 0, s9
	s_mul_hi_u32 s4, s7, s6
	v_mad_u64_u32 v[6:7], s[0:1], s20, 2, v[2:3]
	v_mad_u64_u32 v[4:5], s[0:1], s20, 1, v[2:3]
                                        ; kill: def $vgpr1 killed $sgpr0 killed $exec
	v_mad_u64_u32 v[10:11], s[0:1], s21, 3, v[10:11]
	s_sub_u32 s61, s5, s18
	s_subb_u32 s62, s4, s19
	s_mul_i32 s1, s2, 3
	s_mul_hi_u32 s0, s2, 3
	s_add_u32 s1, s1, s6
	s_addc_u32 s0, s0, 0
	s_mul_i32 s0, s0, s7
	s_mul_hi_u32 s63, s1, s7
	s_add_i32 s74, s63, s0
	s_mul_i32 s73, s1, s7
	s_add_u32 s63, s14, s73
	s_addc_u32 s64, s15, s74
	s_lshl_b64 s[0:1], s[2:3], 1
	s_add_u32 s0, s0, s6
	s_addc_u32 s1, s1, 0
	s_mul_i32 s1, s1, s7
	s_mul_hi_u32 s2, s0, s7
	s_add_i32 s2, s2, s1
	s_mul_i32 s0, s0, s7
	s_add_u32 s65, s14, s0
	s_mul_i32 s49, s33, s7
	s_addc_u32 s66, s15, s2
	s_add_u32 s67, s14, s49
	s_addc_u32 s68, s15, s48
	s_add_u32 s69, s14, s5
	s_addc_u32 s70, s15, s4
	s_sub_u32 s71, s0, s18
	s_subb_u32 s72, s2, s19
	s_sub_u32 s73, s73, s18
	v_lshl_add_u32 v7, s21, 1, v7
	v_add_u32_e32 v5, s21, v5
	v_mov_b32_e32 v9, v10
	s_subb_u32 s74, s74, s19
	v_and_b32_e32 v22, -4, v20
	v_mov_b32_e32 v23, v21
	s_sub_u32 s75, s49, s18
	v_pk_mov_b32 v[10:11], v[8:9], v[8:9] op_sel:[0,1]
	s_mov_b32 s33, s34
	s_mov_b32 s50, s35
	;; [unrolled: 1-line block ×20, first 2 shown]
	s_mov_b64 s[44:45], 0
	s_subb_u32 s76, s48, s19
	v_mov_b32_e32 v24, 0
	v_pk_mov_b32 v[26:27], v[22:23], v[22:23] op_sel:[0,1]
	v_pk_mov_b32 v[8:9], v[6:7], v[6:7] op_sel:[0,1]
	v_pk_mov_b32 v[6:7], v[4:5], v[4:5] op_sel:[0,1]
	v_pk_mov_b32 v[4:5], v[2:3], v[2:3] op_sel:[0,1]
	s_branch .LBB26_11
.LBB26_9:                               ;   in Loop: Header=BB26_11 Depth=1
	s_or_b64 exec, exec, s[0:1]
.LBB26_10:                              ;   in Loop: Header=BB26_11 Depth=1
	v_ashrrev_i32_e32 v40, 31, v13
	v_and_b32_e32 v41, s23, v40
	v_and_b32_e32 v40, s22, v40
	v_ashrrev_i32_e32 v38, 31, v15
	v_add_co_u32_e32 v12, vcc, v40, v12
	v_and_b32_e32 v39, s56, v38
	v_and_b32_e32 v38, s55, v38
	v_addc_co_u32_e32 v13, vcc, v41, v13, vcc
	v_ashrrev_i32_e32 v36, 31, v17
	v_add_co_u32_e32 v14, vcc, v38, v14
	v_and_b32_e32 v37, s58, v36
	v_and_b32_e32 v36, s57, v36
	v_addc_co_u32_e32 v15, vcc, v39, v15, vcc
	;; [unrolled: 5-line block ×3, first 2 shown]
	v_add_co_u32_e32 v18, vcc, v1, v18
	v_addc_co_u32_e32 v19, vcc, v25, v19, vcc
	v_mov_b32_e32 v1, s60
	v_sub_co_u32_e32 v25, vcc, s59, v18
	v_subb_co_u32_e32 v1, vcc, v1, v19, vcc
	v_mov_b32_e32 v36, s58
	v_sub_co_u32_e32 v37, vcc, s57, v16
	v_subb_co_u32_e32 v36, vcc, v36, v17, vcc
	;; [unrolled: 3-line block ×4, first 2 shown]
	v_cmp_gt_i64_e32 vcc, s[36:37], v[12:13]
	v_cndmask_b32_e32 v12, v41, v12, vcc
	v_cndmask_b32_e32 v13, v40, v13, vcc
	v_cmp_gt_i64_e32 vcc, s[38:39], v[14:15]
	v_cndmask_b32_e32 v14, v39, v14, vcc
	v_cndmask_b32_e32 v15, v38, v15, vcc
	;; [unrolled: 3-line block ×3, first 2 shown]
	v_cndmask_b32_e64 v40, v13, 0, s[28:29]
	v_cndmask_b32_e64 v41, v12, 0, s[28:29]
	v_pk_mov_b32 v[12:13], s[12:13], s[12:13] op_sel:[0,1]
	v_cmp_gt_i64_e32 vcc, s[42:43], v[18:19]
	v_cndmask_b32_e64 v36, v17, 0, s[28:29]
	v_cndmask_b32_e64 v37, v16, 0, s[28:29]
	;; [unrolled: 1-line block ×4, first 2 shown]
	v_mad_u64_u32 v[14:15], s[0:1], v28, s36, v[12:13]
	v_mul_lo_u32 v16, v28, s37
	v_mul_lo_u32 v17, v29, s36
	v_cndmask_b32_e32 v18, v25, v18, vcc
	v_cndmask_b32_e32 v1, v1, v19, vcc
	v_add3_u32 v15, v17, v15, v16
	v_add_co_u32_e32 v14, vcc, v14, v41
	v_cndmask_b32_e64 v25, v18, 0, s[28:29]
	v_mad_u64_u32 v[16:17], s[0:1], v30, s38, v[12:13]
	v_mul_lo_u32 v18, v30, s39
	v_mul_lo_u32 v19, v31, s38
	v_addc_co_u32_e32 v15, vcc, v15, v40, vcc
	v_add3_u32 v17, v19, v17, v18
	v_add_co_u32_e32 v16, vcc, v16, v39
	v_mad_u64_u32 v[18:19], s[0:1], v32, s40, v[12:13]
	v_mul_lo_u32 v28, v32, s41
	v_mul_lo_u32 v29, v33, s40
	v_addc_co_u32_e32 v17, vcc, v17, v38, vcc
	v_add3_u32 v19, v29, v19, v28
	v_add_co_u32_e32 v18, vcc, v18, v37
	v_mad_u64_u32 v[12:13], s[0:1], v34, s42, v[12:13]
	v_mul_lo_u32 v28, v34, s43
	v_mul_lo_u32 v29, v35, s42
	v_addc_co_u32_e32 v19, vcc, v19, v36, vcc
	v_cndmask_b32_e64 v1, v1, 0, s[28:29]
	v_add3_u32 v13, v29, v13, v28
	v_add_co_u32_e32 v12, vcc, v12, v25
	v_addc_co_u32_e32 v13, vcc, v13, v1, vcc
	global_load_ubyte v1, v[14:15], off
	global_load_ubyte v25, v[16:17], off
	;; [unrolled: 1-line block ×4, first 2 shown]
	v_mov_b32_e32 v13, s70
	v_add_co_u32_e32 v12, vcc, s69, v0
	v_addc_co_u32_e32 v13, vcc, 0, v13, vcc
	v_mov_b32_e32 v15, s68
	v_add_co_u32_e32 v14, vcc, s67, v0
	v_addc_co_u32_e32 v15, vcc, 0, v15, vcc
	v_mov_b32_e32 v17, s66
	v_add_co_u32_e32 v16, vcc, s65, v0
	s_add_u32 s61, s61, s34
	v_addc_co_u32_e32 v17, vcc, 0, v17, vcc
	s_addc_u32 s62, s62, s35
	v_add_co_u32_e32 v18, vcc, s63, v0
	s_add_u32 s63, s63, s34
	v_mov_b32_e32 v19, s64
	s_addc_u32 s64, s64, s35
	s_add_u32 s65, s65, s34
	s_addc_u32 s66, s66, s35
	v_addc_co_u32_e32 v19, vcc, 0, v19, vcc
	s_add_u32 s67, s67, s34
	s_waitcnt vmcnt(3)
	global_store_byte v[12:13], v1, off
	s_waitcnt vmcnt(3)
	global_store_byte v[14:15], v25, off
	;; [unrolled: 2-line block ×4, first 2 shown]
	v_mov_b32_e32 v1, s54
	v_add_co_u32_e32 v10, vcc, s53, v10
	s_addc_u32 s68, s68, s35
	v_addc_co_u32_e32 v11, vcc, v11, v1, vcc
	s_add_u32 s69, s69, s34
	v_mov_b32_e32 v1, s52
	v_add_co_u32_e32 v8, vcc, s51, v8
	s_addc_u32 s70, s70, s35
	v_addc_co_u32_e32 v9, vcc, v9, v1, vcc
	s_add_u32 s71, s71, s34
	;; [unrolled: 5-line block ×3, first 2 shown]
	v_add_co_u32_e32 v26, vcc, -4, v26
	s_addc_u32 s74, s74, s35
	v_addc_co_u32_e32 v27, vcc, -1, v27, vcc
	s_add_u32 s75, s75, s34
	s_addc_u32 s76, s76, s35
	v_cmp_eq_u64_e32 vcc, 0, v[26:27]
	v_mov_b32_e32 v1, s35
	s_or_b64 s[44:45], vcc, s[44:45]
	v_add_co_u32_e32 v4, vcc, s34, v4
	v_addc_co_u32_e32 v5, vcc, v5, v1, vcc
	s_andn2_b64 exec, exec, s[44:45]
	s_cbranch_execz .LBB26_50
.LBB26_11:                              ; =>This Inner Loop Header: Depth=1
	v_or_b32_e32 v25, s9, v5
	v_cmp_ne_u64_e32 vcc, 0, v[24:25]
                                        ; implicit-def: $vgpr28_vgpr29
	s_and_saveexec_b64 s[0:1], vcc
	s_xor_b64 s[2:3], exec, s[0:1]
	s_cbranch_execz .LBB26_13
; %bb.12:                               ;   in Loop: Header=BB26_11 Depth=1
	s_ashr_i32 s4, s9, 31
	s_add_u32 s0, s8, s4
	s_mov_b32 s5, s4
	s_addc_u32 s1, s9, s4
	s_xor_b64 s[6:7], s[0:1], s[4:5]
	v_cvt_f32_u32_e32 v1, s6
	v_cvt_f32_u32_e32 v12, s7
	s_sub_u32 s0, 0, s6
	s_subb_u32 s1, 0, s7
	v_mac_f32_e32 v1, 0x4f800000, v12
	v_rcp_f32_e32 v1, v1
	v_mul_f32_e32 v1, 0x5f7ffffc, v1
	v_mul_f32_e32 v12, 0x2f800000, v1
	v_trunc_f32_e32 v12, v12
	v_mac_f32_e32 v1, 0xcf800000, v12
	v_cvt_u32_f32_e32 v12, v12
	v_cvt_u32_f32_e32 v1, v1
	v_mul_lo_u32 v13, s0, v12
	v_mul_hi_u32 v15, s0, v1
	v_mul_lo_u32 v14, s1, v1
	v_add_u32_e32 v13, v15, v13
	v_mul_lo_u32 v16, s0, v1
	v_add_u32_e32 v13, v13, v14
	v_mul_lo_u32 v15, v1, v13
	v_mul_hi_u32 v17, v1, v16
	v_mul_hi_u32 v14, v1, v13
	v_add_co_u32_e32 v15, vcc, v17, v15
	v_addc_co_u32_e32 v14, vcc, 0, v14, vcc
	v_mul_hi_u32 v18, v12, v16
	v_mul_lo_u32 v16, v12, v16
	v_add_co_u32_e32 v15, vcc, v15, v16
	v_mul_hi_u32 v17, v12, v13
	v_addc_co_u32_e32 v14, vcc, v14, v18, vcc
	v_addc_co_u32_e32 v15, vcc, 0, v17, vcc
	v_mul_lo_u32 v13, v12, v13
	v_add_co_u32_e32 v13, vcc, v14, v13
	v_addc_co_u32_e32 v14, vcc, 0, v15, vcc
	v_add_co_u32_e32 v1, vcc, v1, v13
	v_addc_co_u32_e32 v12, vcc, v12, v14, vcc
	v_mul_lo_u32 v13, s0, v12
	v_mul_hi_u32 v14, s0, v1
	v_add_u32_e32 v13, v14, v13
	v_mul_lo_u32 v14, s1, v1
	v_add_u32_e32 v13, v13, v14
	v_mul_lo_u32 v15, s0, v1
	v_mul_hi_u32 v16, v12, v15
	v_mul_lo_u32 v17, v12, v15
	v_mul_lo_u32 v19, v1, v13
	v_mul_hi_u32 v15, v1, v15
	v_mul_hi_u32 v18, v1, v13
	v_add_co_u32_e32 v15, vcc, v15, v19
	v_addc_co_u32_e32 v18, vcc, 0, v18, vcc
	v_add_co_u32_e32 v15, vcc, v15, v17
	v_mul_hi_u32 v14, v12, v13
	v_addc_co_u32_e32 v15, vcc, v18, v16, vcc
	v_addc_co_u32_e32 v14, vcc, 0, v14, vcc
	v_mul_lo_u32 v13, v12, v13
	v_add_co_u32_e32 v13, vcc, v15, v13
	v_addc_co_u32_e32 v14, vcc, 0, v14, vcc
	v_add_co_u32_e32 v1, vcc, v1, v13
	v_addc_co_u32_e32 v14, vcc, v12, v14, vcc
	v_ashrrev_i32_e32 v16, 31, v5
	v_add_co_u32_e32 v12, vcc, v4, v16
	v_addc_co_u32_e32 v13, vcc, v5, v16, vcc
	v_xor_b32_e32 v18, v12, v16
	v_xor_b32_e32 v17, v13, v16
	v_mad_u64_u32 v[12:13], s[0:1], v18, v14, 0
	v_mul_hi_u32 v15, v18, v1
	v_add_co_u32_e32 v19, vcc, v15, v12
	v_addc_co_u32_e32 v25, vcc, 0, v13, vcc
	v_mad_u64_u32 v[12:13], s[0:1], v17, v14, 0
	v_mad_u64_u32 v[14:15], s[0:1], v17, v1, 0
	v_add_co_u32_e32 v1, vcc, v19, v14
	v_addc_co_u32_e32 v1, vcc, v25, v15, vcc
	v_addc_co_u32_e32 v13, vcc, 0, v13, vcc
	v_add_co_u32_e32 v1, vcc, v1, v12
	v_addc_co_u32_e32 v14, vcc, 0, v13, vcc
	v_mul_lo_u32 v15, s7, v1
	v_mul_lo_u32 v19, s6, v14
	v_mad_u64_u32 v[12:13], s[0:1], s6, v1, 0
	v_add3_u32 v13, v13, v19, v15
	v_sub_u32_e32 v15, v17, v13
	v_mov_b32_e32 v19, s7
	v_sub_co_u32_e32 v12, vcc, v18, v12
	v_subb_co_u32_e64 v15, s[0:1], v15, v19, vcc
	v_subrev_co_u32_e64 v18, s[0:1], s6, v12
	v_subbrev_co_u32_e64 v15, s[0:1], 0, v15, s[0:1]
	v_cmp_le_u32_e64 s[0:1], s7, v15
	v_cndmask_b32_e64 v19, 0, -1, s[0:1]
	v_cmp_le_u32_e64 s[0:1], s6, v18
	v_cndmask_b32_e64 v18, 0, -1, s[0:1]
	v_cmp_eq_u32_e64 s[0:1], s7, v15
	v_cndmask_b32_e64 v15, v19, v18, s[0:1]
	v_add_co_u32_e64 v18, s[0:1], 2, v1
	v_subb_co_u32_e32 v13, vcc, v17, v13, vcc
	v_addc_co_u32_e64 v19, s[0:1], 0, v14, s[0:1]
	v_cmp_le_u32_e32 vcc, s7, v13
	v_add_co_u32_e64 v25, s[0:1], 1, v1
	v_cndmask_b32_e64 v17, 0, -1, vcc
	v_cmp_le_u32_e32 vcc, s6, v12
	v_addc_co_u32_e64 v28, s[0:1], 0, v14, s[0:1]
	v_cndmask_b32_e64 v12, 0, -1, vcc
	v_cmp_eq_u32_e32 vcc, s7, v13
	v_cmp_ne_u32_e64 s[0:1], 0, v15
	v_cndmask_b32_e32 v12, v17, v12, vcc
	v_cmp_ne_u32_e32 vcc, 0, v12
	v_cndmask_b32_e64 v13, v25, v18, s[0:1]
	v_cndmask_b32_e64 v15, v28, v19, s[0:1]
	v_cndmask_b32_e32 v1, v1, v13, vcc
	v_xor_b32_e32 v13, s4, v16
	v_cndmask_b32_e32 v12, v14, v15, vcc
	v_xor_b32_e32 v1, v1, v13
	v_xor_b32_e32 v12, v12, v13
	v_sub_co_u32_e32 v28, vcc, v1, v13
	v_subb_co_u32_e32 v29, vcc, v12, v13, vcc
.LBB26_13:                              ;   in Loop: Header=BB26_11 Depth=1
	s_or_saveexec_b64 s[0:1], s[2:3]
	v_cvt_f32_u32_e32 v1, s8
	v_rcp_iflag_f32_e32 v1, v1
	s_xor_b64 exec, exec, s[0:1]
	s_cbranch_execz .LBB26_15
; %bb.14:                               ;   in Loop: Header=BB26_11 Depth=1
	v_mul_f32_e32 v12, 0x4f7ffffe, v1
	v_cvt_u32_f32_e32 v12, v12
	s_sub_i32 s2, 0, s8
	v_mov_b32_e32 v29, v24
	v_mul_lo_u32 v13, s2, v12
	v_mul_hi_u32 v13, v12, v13
	v_add_u32_e32 v12, v12, v13
	v_mul_hi_u32 v12, v4, v12
	v_mul_lo_u32 v13, v12, s8
	v_sub_u32_e32 v13, v4, v13
	v_add_u32_e32 v14, 1, v12
	v_subrev_u32_e32 v15, s8, v13
	v_cmp_le_u32_e32 vcc, s8, v13
	v_cndmask_b32_e32 v13, v13, v15, vcc
	v_cndmask_b32_e32 v12, v12, v14, vcc
	v_add_u32_e32 v14, 1, v12
	v_cmp_le_u32_e32 vcc, s8, v13
	v_cndmask_b32_e32 v28, v12, v14, vcc
.LBB26_15:                              ;   in Loop: Header=BB26_11 Depth=1
	s_or_b64 exec, exec, s[0:1]
	v_or_b32_e32 v25, s9, v7
	v_cmp_ne_u64_e32 vcc, 0, v[24:25]
                                        ; implicit-def: $vgpr30_vgpr31
	s_and_saveexec_b64 s[0:1], vcc
	s_xor_b64 s[2:3], exec, s[0:1]
	s_cbranch_execz .LBB26_17
; %bb.16:                               ;   in Loop: Header=BB26_11 Depth=1
	s_ashr_i32 s4, s9, 31
	s_add_u32 s0, s8, s4
	s_mov_b32 s5, s4
	s_addc_u32 s1, s9, s4
	s_xor_b64 s[6:7], s[0:1], s[4:5]
	v_cvt_f32_u32_e32 v12, s6
	v_cvt_f32_u32_e32 v13, s7
	s_sub_u32 s0, 0, s6
	s_subb_u32 s1, 0, s7
	v_mac_f32_e32 v12, 0x4f800000, v13
	v_rcp_f32_e32 v12, v12
	v_mul_f32_e32 v12, 0x5f7ffffc, v12
	v_mul_f32_e32 v13, 0x2f800000, v12
	v_trunc_f32_e32 v13, v13
	v_mac_f32_e32 v12, 0xcf800000, v13
	v_cvt_u32_f32_e32 v13, v13
	v_cvt_u32_f32_e32 v12, v12
	v_mul_lo_u32 v14, s0, v13
	v_mul_hi_u32 v16, s0, v12
	v_mul_lo_u32 v15, s1, v12
	v_add_u32_e32 v14, v16, v14
	v_mul_lo_u32 v17, s0, v12
	v_add_u32_e32 v14, v14, v15
	v_mul_lo_u32 v16, v12, v14
	v_mul_hi_u32 v18, v12, v17
	v_mul_hi_u32 v15, v12, v14
	v_add_co_u32_e32 v16, vcc, v18, v16
	v_addc_co_u32_e32 v15, vcc, 0, v15, vcc
	v_mul_hi_u32 v19, v13, v17
	v_mul_lo_u32 v17, v13, v17
	v_add_co_u32_e32 v16, vcc, v16, v17
	v_mul_hi_u32 v18, v13, v14
	v_addc_co_u32_e32 v15, vcc, v15, v19, vcc
	v_addc_co_u32_e32 v16, vcc, 0, v18, vcc
	v_mul_lo_u32 v14, v13, v14
	v_add_co_u32_e32 v14, vcc, v15, v14
	v_addc_co_u32_e32 v15, vcc, 0, v16, vcc
	v_add_co_u32_e32 v12, vcc, v12, v14
	v_addc_co_u32_e32 v13, vcc, v13, v15, vcc
	v_mul_lo_u32 v14, s0, v13
	v_mul_hi_u32 v15, s0, v12
	v_add_u32_e32 v14, v15, v14
	v_mul_lo_u32 v15, s1, v12
	v_add_u32_e32 v14, v14, v15
	v_mul_lo_u32 v16, s0, v12
	v_mul_hi_u32 v17, v13, v16
	v_mul_lo_u32 v18, v13, v16
	v_mul_lo_u32 v25, v12, v14
	v_mul_hi_u32 v16, v12, v16
	v_mul_hi_u32 v19, v12, v14
	v_add_co_u32_e32 v16, vcc, v16, v25
	v_addc_co_u32_e32 v19, vcc, 0, v19, vcc
	v_add_co_u32_e32 v16, vcc, v16, v18
	v_mul_hi_u32 v15, v13, v14
	v_addc_co_u32_e32 v16, vcc, v19, v17, vcc
	v_addc_co_u32_e32 v15, vcc, 0, v15, vcc
	v_mul_lo_u32 v14, v13, v14
	v_add_co_u32_e32 v14, vcc, v16, v14
	v_addc_co_u32_e32 v15, vcc, 0, v15, vcc
	v_add_co_u32_e32 v14, vcc, v12, v14
	v_addc_co_u32_e32 v15, vcc, v13, v15, vcc
	v_ashrrev_i32_e32 v16, 31, v7
	v_add_co_u32_e32 v12, vcc, v6, v16
	v_addc_co_u32_e32 v13, vcc, v7, v16, vcc
	v_xor_b32_e32 v18, v12, v16
	v_xor_b32_e32 v17, v13, v16
	v_mad_u64_u32 v[12:13], s[0:1], v18, v15, 0
	v_mul_hi_u32 v19, v18, v14
	v_add_co_u32_e32 v19, vcc, v19, v12
	v_addc_co_u32_e32 v25, vcc, 0, v13, vcc
	v_mad_u64_u32 v[12:13], s[0:1], v17, v15, 0
	v_mad_u64_u32 v[14:15], s[0:1], v17, v14, 0
	v_add_co_u32_e32 v14, vcc, v19, v14
	v_addc_co_u32_e32 v14, vcc, v25, v15, vcc
	v_addc_co_u32_e32 v13, vcc, 0, v13, vcc
	v_add_co_u32_e32 v14, vcc, v14, v12
	v_addc_co_u32_e32 v15, vcc, 0, v13, vcc
	v_mul_lo_u32 v19, s7, v14
	v_mul_lo_u32 v25, s6, v15
	v_mad_u64_u32 v[12:13], s[0:1], s6, v14, 0
	v_add3_u32 v13, v13, v25, v19
	v_sub_u32_e32 v19, v17, v13
	v_mov_b32_e32 v25, s7
	v_sub_co_u32_e32 v12, vcc, v18, v12
	v_subb_co_u32_e64 v18, s[0:1], v19, v25, vcc
	v_subrev_co_u32_e64 v19, s[0:1], s6, v12
	v_subbrev_co_u32_e64 v18, s[0:1], 0, v18, s[0:1]
	v_cmp_le_u32_e64 s[0:1], s7, v18
	v_cndmask_b32_e64 v25, 0, -1, s[0:1]
	v_cmp_le_u32_e64 s[0:1], s6, v19
	v_cndmask_b32_e64 v19, 0, -1, s[0:1]
	v_cmp_eq_u32_e64 s[0:1], s7, v18
	v_cndmask_b32_e64 v18, v25, v19, s[0:1]
	v_add_co_u32_e64 v19, s[0:1], 2, v14
	v_subb_co_u32_e32 v13, vcc, v17, v13, vcc
	v_addc_co_u32_e64 v25, s[0:1], 0, v15, s[0:1]
	v_cmp_le_u32_e32 vcc, s7, v13
	v_add_co_u32_e64 v30, s[0:1], 1, v14
	v_cndmask_b32_e64 v17, 0, -1, vcc
	v_cmp_le_u32_e32 vcc, s6, v12
	v_addc_co_u32_e64 v31, s[0:1], 0, v15, s[0:1]
	v_cndmask_b32_e64 v12, 0, -1, vcc
	v_cmp_eq_u32_e32 vcc, s7, v13
	v_cmp_ne_u32_e64 s[0:1], 0, v18
	v_cndmask_b32_e32 v12, v17, v12, vcc
	v_cmp_ne_u32_e32 vcc, 0, v12
	v_cndmask_b32_e64 v13, v30, v19, s[0:1]
	v_cndmask_b32_e64 v18, v31, v25, s[0:1]
	v_cndmask_b32_e32 v13, v14, v13, vcc
	v_xor_b32_e32 v14, s4, v16
	v_cndmask_b32_e32 v12, v15, v18, vcc
	v_xor_b32_e32 v13, v13, v14
	v_xor_b32_e32 v12, v12, v14
	v_sub_co_u32_e32 v30, vcc, v13, v14
	v_subb_co_u32_e32 v31, vcc, v12, v14, vcc
.LBB26_17:                              ;   in Loop: Header=BB26_11 Depth=1
	s_andn2_saveexec_b64 s[0:1], s[2:3]
	s_cbranch_execz .LBB26_19
; %bb.18:                               ;   in Loop: Header=BB26_11 Depth=1
	v_mul_f32_e32 v12, 0x4f7ffffe, v1
	v_cvt_u32_f32_e32 v12, v12
	s_sub_i32 s2, 0, s8
	v_mov_b32_e32 v31, v24
	v_mul_lo_u32 v13, s2, v12
	v_mul_hi_u32 v13, v12, v13
	v_add_u32_e32 v12, v12, v13
	v_mul_hi_u32 v12, v6, v12
	v_mul_lo_u32 v13, v12, s8
	v_sub_u32_e32 v13, v6, v13
	v_add_u32_e32 v14, 1, v12
	v_subrev_u32_e32 v15, s8, v13
	v_cmp_le_u32_e32 vcc, s8, v13
	v_cndmask_b32_e32 v13, v13, v15, vcc
	v_cndmask_b32_e32 v12, v12, v14, vcc
	v_add_u32_e32 v14, 1, v12
	v_cmp_le_u32_e32 vcc, s8, v13
	v_cndmask_b32_e32 v30, v12, v14, vcc
.LBB26_19:                              ;   in Loop: Header=BB26_11 Depth=1
	s_or_b64 exec, exec, s[0:1]
	v_or_b32_e32 v25, s9, v9
	v_cmp_ne_u64_e32 vcc, 0, v[24:25]
                                        ; implicit-def: $vgpr32_vgpr33
	s_and_saveexec_b64 s[0:1], vcc
	s_xor_b64 s[2:3], exec, s[0:1]
	s_cbranch_execz .LBB26_21
; %bb.20:                               ;   in Loop: Header=BB26_11 Depth=1
	s_ashr_i32 s4, s9, 31
	s_add_u32 s0, s8, s4
	s_mov_b32 s5, s4
	s_addc_u32 s1, s9, s4
	s_xor_b64 s[6:7], s[0:1], s[4:5]
	v_cvt_f32_u32_e32 v12, s6
	v_cvt_f32_u32_e32 v13, s7
	s_sub_u32 s0, 0, s6
	s_subb_u32 s1, 0, s7
	v_mac_f32_e32 v12, 0x4f800000, v13
	v_rcp_f32_e32 v12, v12
	v_mul_f32_e32 v12, 0x5f7ffffc, v12
	v_mul_f32_e32 v13, 0x2f800000, v12
	v_trunc_f32_e32 v13, v13
	v_mac_f32_e32 v12, 0xcf800000, v13
	v_cvt_u32_f32_e32 v13, v13
	v_cvt_u32_f32_e32 v12, v12
	v_mul_lo_u32 v14, s0, v13
	v_mul_hi_u32 v16, s0, v12
	v_mul_lo_u32 v15, s1, v12
	v_add_u32_e32 v14, v16, v14
	v_mul_lo_u32 v17, s0, v12
	v_add_u32_e32 v14, v14, v15
	v_mul_lo_u32 v16, v12, v14
	v_mul_hi_u32 v18, v12, v17
	v_mul_hi_u32 v15, v12, v14
	v_add_co_u32_e32 v16, vcc, v18, v16
	v_addc_co_u32_e32 v15, vcc, 0, v15, vcc
	v_mul_hi_u32 v19, v13, v17
	v_mul_lo_u32 v17, v13, v17
	v_add_co_u32_e32 v16, vcc, v16, v17
	v_mul_hi_u32 v18, v13, v14
	v_addc_co_u32_e32 v15, vcc, v15, v19, vcc
	v_addc_co_u32_e32 v16, vcc, 0, v18, vcc
	v_mul_lo_u32 v14, v13, v14
	v_add_co_u32_e32 v14, vcc, v15, v14
	v_addc_co_u32_e32 v15, vcc, 0, v16, vcc
	v_add_co_u32_e32 v12, vcc, v12, v14
	v_addc_co_u32_e32 v13, vcc, v13, v15, vcc
	v_mul_lo_u32 v14, s0, v13
	v_mul_hi_u32 v15, s0, v12
	v_add_u32_e32 v14, v15, v14
	v_mul_lo_u32 v15, s1, v12
	v_add_u32_e32 v14, v14, v15
	v_mul_lo_u32 v16, s0, v12
	v_mul_hi_u32 v17, v13, v16
	v_mul_lo_u32 v18, v13, v16
	v_mul_lo_u32 v25, v12, v14
	v_mul_hi_u32 v16, v12, v16
	v_mul_hi_u32 v19, v12, v14
	v_add_co_u32_e32 v16, vcc, v16, v25
	v_addc_co_u32_e32 v19, vcc, 0, v19, vcc
	v_add_co_u32_e32 v16, vcc, v16, v18
	v_mul_hi_u32 v15, v13, v14
	v_addc_co_u32_e32 v16, vcc, v19, v17, vcc
	v_addc_co_u32_e32 v15, vcc, 0, v15, vcc
	v_mul_lo_u32 v14, v13, v14
	v_add_co_u32_e32 v14, vcc, v16, v14
	v_addc_co_u32_e32 v15, vcc, 0, v15, vcc
	v_add_co_u32_e32 v14, vcc, v12, v14
	v_addc_co_u32_e32 v15, vcc, v13, v15, vcc
	v_ashrrev_i32_e32 v16, 31, v9
	v_add_co_u32_e32 v12, vcc, v8, v16
	v_addc_co_u32_e32 v13, vcc, v9, v16, vcc
	v_xor_b32_e32 v18, v12, v16
	v_xor_b32_e32 v17, v13, v16
	v_mad_u64_u32 v[12:13], s[0:1], v18, v15, 0
	v_mul_hi_u32 v19, v18, v14
	v_add_co_u32_e32 v19, vcc, v19, v12
	v_addc_co_u32_e32 v25, vcc, 0, v13, vcc
	v_mad_u64_u32 v[12:13], s[0:1], v17, v15, 0
	v_mad_u64_u32 v[14:15], s[0:1], v17, v14, 0
	v_add_co_u32_e32 v14, vcc, v19, v14
	v_addc_co_u32_e32 v14, vcc, v25, v15, vcc
	v_addc_co_u32_e32 v13, vcc, 0, v13, vcc
	v_add_co_u32_e32 v14, vcc, v14, v12
	v_addc_co_u32_e32 v15, vcc, 0, v13, vcc
	v_mul_lo_u32 v19, s7, v14
	v_mul_lo_u32 v25, s6, v15
	v_mad_u64_u32 v[12:13], s[0:1], s6, v14, 0
	v_add3_u32 v13, v13, v25, v19
	v_sub_u32_e32 v19, v17, v13
	v_mov_b32_e32 v25, s7
	v_sub_co_u32_e32 v12, vcc, v18, v12
	v_subb_co_u32_e64 v18, s[0:1], v19, v25, vcc
	v_subrev_co_u32_e64 v19, s[0:1], s6, v12
	v_subbrev_co_u32_e64 v18, s[0:1], 0, v18, s[0:1]
	v_cmp_le_u32_e64 s[0:1], s7, v18
	v_cndmask_b32_e64 v25, 0, -1, s[0:1]
	v_cmp_le_u32_e64 s[0:1], s6, v19
	v_cndmask_b32_e64 v19, 0, -1, s[0:1]
	v_cmp_eq_u32_e64 s[0:1], s7, v18
	v_cndmask_b32_e64 v18, v25, v19, s[0:1]
	v_add_co_u32_e64 v19, s[0:1], 2, v14
	v_subb_co_u32_e32 v13, vcc, v17, v13, vcc
	v_addc_co_u32_e64 v25, s[0:1], 0, v15, s[0:1]
	v_cmp_le_u32_e32 vcc, s7, v13
	v_add_co_u32_e64 v32, s[0:1], 1, v14
	v_cndmask_b32_e64 v17, 0, -1, vcc
	v_cmp_le_u32_e32 vcc, s6, v12
	v_addc_co_u32_e64 v33, s[0:1], 0, v15, s[0:1]
	v_cndmask_b32_e64 v12, 0, -1, vcc
	v_cmp_eq_u32_e32 vcc, s7, v13
	v_cmp_ne_u32_e64 s[0:1], 0, v18
	v_cndmask_b32_e32 v12, v17, v12, vcc
	v_cmp_ne_u32_e32 vcc, 0, v12
	v_cndmask_b32_e64 v13, v32, v19, s[0:1]
	v_cndmask_b32_e64 v18, v33, v25, s[0:1]
	v_cndmask_b32_e32 v13, v14, v13, vcc
	v_xor_b32_e32 v14, s4, v16
	v_cndmask_b32_e32 v12, v15, v18, vcc
	v_xor_b32_e32 v13, v13, v14
	v_xor_b32_e32 v12, v12, v14
	v_sub_co_u32_e32 v32, vcc, v13, v14
	v_subb_co_u32_e32 v33, vcc, v12, v14, vcc
.LBB26_21:                              ;   in Loop: Header=BB26_11 Depth=1
	s_andn2_saveexec_b64 s[0:1], s[2:3]
	s_cbranch_execz .LBB26_23
; %bb.22:                               ;   in Loop: Header=BB26_11 Depth=1
	v_mul_f32_e32 v12, 0x4f7ffffe, v1
	v_cvt_u32_f32_e32 v12, v12
	s_sub_i32 s2, 0, s8
	v_mov_b32_e32 v33, v24
	v_mul_lo_u32 v13, s2, v12
	v_mul_hi_u32 v13, v12, v13
	v_add_u32_e32 v12, v12, v13
	v_mul_hi_u32 v12, v8, v12
	v_mul_lo_u32 v13, v12, s8
	v_sub_u32_e32 v13, v8, v13
	v_add_u32_e32 v14, 1, v12
	v_subrev_u32_e32 v15, s8, v13
	v_cmp_le_u32_e32 vcc, s8, v13
	v_cndmask_b32_e32 v13, v13, v15, vcc
	v_cndmask_b32_e32 v12, v12, v14, vcc
	v_add_u32_e32 v14, 1, v12
	v_cmp_le_u32_e32 vcc, s8, v13
	v_cndmask_b32_e32 v32, v12, v14, vcc
.LBB26_23:                              ;   in Loop: Header=BB26_11 Depth=1
	s_or_b64 exec, exec, s[0:1]
	v_or_b32_e32 v25, s9, v11
	v_cmp_ne_u64_e32 vcc, 0, v[24:25]
                                        ; implicit-def: $vgpr34_vgpr35
	s_and_saveexec_b64 s[0:1], vcc
	s_xor_b64 s[2:3], exec, s[0:1]
	s_cbranch_execz .LBB26_25
; %bb.24:                               ;   in Loop: Header=BB26_11 Depth=1
	s_ashr_i32 s4, s9, 31
	s_add_u32 s0, s8, s4
	s_mov_b32 s5, s4
	s_addc_u32 s1, s9, s4
	s_xor_b64 s[6:7], s[0:1], s[4:5]
	v_cvt_f32_u32_e32 v1, s6
	v_cvt_f32_u32_e32 v12, s7
	s_sub_u32 s0, 0, s6
	s_subb_u32 s1, 0, s7
	v_mac_f32_e32 v1, 0x4f800000, v12
	v_rcp_f32_e32 v1, v1
	v_mul_f32_e32 v1, 0x5f7ffffc, v1
	v_mul_f32_e32 v12, 0x2f800000, v1
	v_trunc_f32_e32 v12, v12
	v_mac_f32_e32 v1, 0xcf800000, v12
	v_cvt_u32_f32_e32 v12, v12
	v_cvt_u32_f32_e32 v1, v1
	v_mul_lo_u32 v13, s0, v12
	v_mul_hi_u32 v15, s0, v1
	v_mul_lo_u32 v14, s1, v1
	v_add_u32_e32 v13, v15, v13
	v_mul_lo_u32 v16, s0, v1
	v_add_u32_e32 v13, v13, v14
	v_mul_lo_u32 v15, v1, v13
	v_mul_hi_u32 v17, v1, v16
	v_mul_hi_u32 v14, v1, v13
	v_add_co_u32_e32 v15, vcc, v17, v15
	v_addc_co_u32_e32 v14, vcc, 0, v14, vcc
	v_mul_hi_u32 v18, v12, v16
	v_mul_lo_u32 v16, v12, v16
	v_add_co_u32_e32 v15, vcc, v15, v16
	v_mul_hi_u32 v17, v12, v13
	v_addc_co_u32_e32 v14, vcc, v14, v18, vcc
	v_addc_co_u32_e32 v15, vcc, 0, v17, vcc
	v_mul_lo_u32 v13, v12, v13
	v_add_co_u32_e32 v13, vcc, v14, v13
	v_addc_co_u32_e32 v14, vcc, 0, v15, vcc
	v_add_co_u32_e32 v1, vcc, v1, v13
	v_addc_co_u32_e32 v12, vcc, v12, v14, vcc
	v_mul_lo_u32 v13, s0, v12
	v_mul_hi_u32 v14, s0, v1
	v_add_u32_e32 v13, v14, v13
	v_mul_lo_u32 v14, s1, v1
	v_add_u32_e32 v13, v13, v14
	v_mul_lo_u32 v15, s0, v1
	v_mul_hi_u32 v16, v12, v15
	v_mul_lo_u32 v17, v12, v15
	v_mul_lo_u32 v19, v1, v13
	v_mul_hi_u32 v15, v1, v15
	v_mul_hi_u32 v18, v1, v13
	v_add_co_u32_e32 v15, vcc, v15, v19
	v_addc_co_u32_e32 v18, vcc, 0, v18, vcc
	v_add_co_u32_e32 v15, vcc, v15, v17
	v_mul_hi_u32 v14, v12, v13
	v_addc_co_u32_e32 v15, vcc, v18, v16, vcc
	v_addc_co_u32_e32 v14, vcc, 0, v14, vcc
	v_mul_lo_u32 v13, v12, v13
	v_add_co_u32_e32 v13, vcc, v15, v13
	v_addc_co_u32_e32 v14, vcc, 0, v14, vcc
	v_add_co_u32_e32 v1, vcc, v1, v13
	v_addc_co_u32_e32 v14, vcc, v12, v14, vcc
	v_ashrrev_i32_e32 v16, 31, v11
	v_add_co_u32_e32 v12, vcc, v10, v16
	v_addc_co_u32_e32 v13, vcc, v11, v16, vcc
	v_xor_b32_e32 v18, v12, v16
	v_xor_b32_e32 v17, v13, v16
	v_mad_u64_u32 v[12:13], s[0:1], v18, v14, 0
	v_mul_hi_u32 v15, v18, v1
	v_add_co_u32_e32 v19, vcc, v15, v12
	v_addc_co_u32_e32 v25, vcc, 0, v13, vcc
	v_mad_u64_u32 v[12:13], s[0:1], v17, v14, 0
	v_mad_u64_u32 v[14:15], s[0:1], v17, v1, 0
	v_add_co_u32_e32 v1, vcc, v19, v14
	v_addc_co_u32_e32 v1, vcc, v25, v15, vcc
	v_addc_co_u32_e32 v13, vcc, 0, v13, vcc
	v_add_co_u32_e32 v1, vcc, v1, v12
	v_addc_co_u32_e32 v14, vcc, 0, v13, vcc
	v_mul_lo_u32 v15, s7, v1
	v_mul_lo_u32 v19, s6, v14
	v_mad_u64_u32 v[12:13], s[0:1], s6, v1, 0
	v_add3_u32 v13, v13, v19, v15
	v_sub_u32_e32 v15, v17, v13
	v_mov_b32_e32 v19, s7
	v_sub_co_u32_e32 v12, vcc, v18, v12
	v_subb_co_u32_e64 v15, s[0:1], v15, v19, vcc
	v_subrev_co_u32_e64 v18, s[0:1], s6, v12
	v_subbrev_co_u32_e64 v15, s[0:1], 0, v15, s[0:1]
	v_cmp_le_u32_e64 s[0:1], s7, v15
	v_cndmask_b32_e64 v19, 0, -1, s[0:1]
	v_cmp_le_u32_e64 s[0:1], s6, v18
	v_cndmask_b32_e64 v18, 0, -1, s[0:1]
	v_cmp_eq_u32_e64 s[0:1], s7, v15
	v_cndmask_b32_e64 v15, v19, v18, s[0:1]
	v_add_co_u32_e64 v18, s[0:1], 2, v1
	v_subb_co_u32_e32 v13, vcc, v17, v13, vcc
	v_addc_co_u32_e64 v19, s[0:1], 0, v14, s[0:1]
	v_cmp_le_u32_e32 vcc, s7, v13
	v_add_co_u32_e64 v25, s[0:1], 1, v1
	v_cndmask_b32_e64 v17, 0, -1, vcc
	v_cmp_le_u32_e32 vcc, s6, v12
	v_addc_co_u32_e64 v34, s[0:1], 0, v14, s[0:1]
	v_cndmask_b32_e64 v12, 0, -1, vcc
	v_cmp_eq_u32_e32 vcc, s7, v13
	v_cmp_ne_u32_e64 s[0:1], 0, v15
	v_cndmask_b32_e32 v12, v17, v12, vcc
	v_cmp_ne_u32_e32 vcc, 0, v12
	v_cndmask_b32_e64 v13, v25, v18, s[0:1]
	v_cndmask_b32_e64 v15, v34, v19, s[0:1]
	v_cndmask_b32_e32 v1, v1, v13, vcc
	v_xor_b32_e32 v13, s4, v16
	v_cndmask_b32_e32 v12, v14, v15, vcc
	v_xor_b32_e32 v1, v1, v13
	v_xor_b32_e32 v12, v12, v13
	v_sub_co_u32_e32 v34, vcc, v1, v13
	v_subb_co_u32_e32 v35, vcc, v12, v13, vcc
                                        ; implicit-def: $vgpr1
.LBB26_25:                              ;   in Loop: Header=BB26_11 Depth=1
	s_andn2_saveexec_b64 s[0:1], s[2:3]
	s_cbranch_execz .LBB26_27
; %bb.26:                               ;   in Loop: Header=BB26_11 Depth=1
	v_mul_f32_e32 v1, 0x4f7ffffe, v1
	v_cvt_u32_f32_e32 v1, v1
	s_sub_i32 s2, 0, s8
	v_mov_b32_e32 v35, v24
	v_mul_lo_u32 v12, s2, v1
	v_mul_hi_u32 v12, v1, v12
	v_add_u32_e32 v1, v1, v12
	v_mul_hi_u32 v1, v10, v1
	v_mul_lo_u32 v12, v1, s8
	v_sub_u32_e32 v12, v10, v12
	v_add_u32_e32 v13, 1, v1
	v_subrev_u32_e32 v14, s8, v12
	v_cmp_le_u32_e32 vcc, s8, v12
	v_cndmask_b32_e32 v12, v12, v14, vcc
	v_cndmask_b32_e32 v1, v1, v13, vcc
	v_add_u32_e32 v13, 1, v1
	v_cmp_le_u32_e32 vcc, s8, v12
	v_cndmask_b32_e32 v34, v1, v13, vcc
.LBB26_27:                              ;   in Loop: Header=BB26_11 Depth=1
	s_or_b64 exec, exec, s[0:1]
	v_cndmask_b32_e64 v1, 0, 1, s[46:47]
	v_cmp_ne_u32_e64 s[0:1], 1, v1
	s_andn2_b64 vcc, exec, s[46:47]
                                        ; implicit-def: $vgpr12_vgpr13_vgpr14_vgpr15_vgpr16_vgpr17_vgpr18_vgpr19
	s_cbranch_vccz .LBB26_31
; %bb.28:                               ;   in Loop: Header=BB26_11 Depth=1
	s_and_b64 vcc, exec, s[0:1]
	s_cbranch_vccz .LBB26_36
.LBB26_29:                              ;   in Loop: Header=BB26_11 Depth=1
	s_and_b64 vcc, exec, s[0:1]
	s_cbranch_vccz .LBB26_41
.LBB26_30:                              ;   in Loop: Header=BB26_11 Depth=1
	s_and_b64 vcc, exec, s[0:1]
	s_cbranch_vccnz .LBB26_10
	s_branch .LBB26_46
.LBB26_31:                              ;   in Loop: Header=BB26_11 Depth=1
	v_mov_b32_e32 v1, s62
	v_add_co_u32_e32 v12, vcc, s61, v0
	v_addc_co_u32_e32 v13, vcc, 0, v1, vcc
	v_mul_lo_u32 v1, s30, v29
	v_mul_lo_u32 v16, s31, v28
	v_mad_u64_u32 v[14:15], s[2:3], s30, v28, v[12:13]
	v_add3_u32 v15, v16, v15, v1
	v_or_b32_e32 v25, s23, v15
	v_cmp_ne_u64_e32 vcc, 0, v[24:25]
                                        ; implicit-def: $vgpr12_vgpr13
	s_and_saveexec_b64 s[2:3], vcc
	s_xor_b64 s[6:7], exec, s[2:3]
	s_cbranch_execz .LBB26_33
; %bb.32:                               ;   in Loop: Header=BB26_11 Depth=1
	s_ashr_i32 s2, s23, 31
	s_add_u32 s4, s22, s2
	s_mov_b32 s3, s2
	s_addc_u32 s5, s23, s2
	s_xor_b64 s[48:49], s[4:5], s[2:3]
	v_cvt_f32_u32_e32 v1, s48
	v_cvt_f32_u32_e32 v12, s49
	s_sub_u32 s2, 0, s48
	s_subb_u32 s3, 0, s49
	v_mac_f32_e32 v1, 0x4f800000, v12
	v_rcp_f32_e32 v1, v1
	v_mul_f32_e32 v1, 0x5f7ffffc, v1
	v_mul_f32_e32 v12, 0x2f800000, v1
	v_trunc_f32_e32 v12, v12
	v_mac_f32_e32 v1, 0xcf800000, v12
	v_cvt_u32_f32_e32 v12, v12
	v_cvt_u32_f32_e32 v1, v1
	v_mul_lo_u32 v13, s2, v12
	v_mul_hi_u32 v17, s2, v1
	v_mul_lo_u32 v16, s3, v1
	v_add_u32_e32 v13, v17, v13
	v_mul_lo_u32 v18, s2, v1
	v_add_u32_e32 v13, v13, v16
	v_mul_lo_u32 v17, v1, v13
	v_mul_hi_u32 v19, v1, v18
	v_mul_hi_u32 v16, v1, v13
	v_add_co_u32_e32 v17, vcc, v19, v17
	v_addc_co_u32_e32 v16, vcc, 0, v16, vcc
	v_mul_hi_u32 v25, v12, v18
	v_mul_lo_u32 v18, v12, v18
	v_add_co_u32_e32 v17, vcc, v17, v18
	v_mul_hi_u32 v19, v12, v13
	v_addc_co_u32_e32 v16, vcc, v16, v25, vcc
	v_addc_co_u32_e32 v17, vcc, 0, v19, vcc
	v_mul_lo_u32 v13, v12, v13
	v_add_co_u32_e32 v13, vcc, v16, v13
	v_addc_co_u32_e32 v16, vcc, 0, v17, vcc
	v_add_co_u32_e32 v1, vcc, v1, v13
	v_addc_co_u32_e32 v12, vcc, v12, v16, vcc
	v_mul_lo_u32 v13, s2, v12
	v_mul_hi_u32 v16, s2, v1
	v_add_u32_e32 v13, v16, v13
	v_mul_lo_u32 v16, s3, v1
	v_add_u32_e32 v13, v13, v16
	v_mul_lo_u32 v17, s2, v1
	v_mul_hi_u32 v18, v12, v17
	v_mul_lo_u32 v19, v12, v17
	v_mul_lo_u32 v36, v1, v13
	v_mul_hi_u32 v17, v1, v17
	v_mul_hi_u32 v25, v1, v13
	v_add_co_u32_e32 v17, vcc, v17, v36
	v_addc_co_u32_e32 v25, vcc, 0, v25, vcc
	v_add_co_u32_e32 v17, vcc, v17, v19
	v_mul_hi_u32 v16, v12, v13
	v_addc_co_u32_e32 v17, vcc, v25, v18, vcc
	v_addc_co_u32_e32 v16, vcc, 0, v16, vcc
	v_mul_lo_u32 v13, v12, v13
	v_add_co_u32_e32 v13, vcc, v17, v13
	v_addc_co_u32_e32 v16, vcc, 0, v16, vcc
	v_add_co_u32_e32 v1, vcc, v1, v13
	v_addc_co_u32_e32 v16, vcc, v12, v16, vcc
	v_ashrrev_i32_e32 v17, 31, v15
	v_add_co_u32_e32 v12, vcc, v14, v17
	v_addc_co_u32_e32 v13, vcc, v15, v17, vcc
	v_xor_b32_e32 v19, v12, v17
	v_xor_b32_e32 v18, v13, v17
	v_mad_u64_u32 v[12:13], s[2:3], v19, v16, 0
	v_mul_hi_u32 v14, v19, v1
	v_add_co_u32_e32 v25, vcc, v14, v12
	v_addc_co_u32_e32 v36, vcc, 0, v13, vcc
	v_mad_u64_u32 v[14:15], s[2:3], v18, v1, 0
	v_add_co_u32_e32 v1, vcc, v25, v14
	v_mad_u64_u32 v[12:13], s[2:3], v18, v16, 0
	v_addc_co_u32_e32 v1, vcc, v36, v15, vcc
	v_addc_co_u32_e32 v13, vcc, 0, v13, vcc
	v_add_co_u32_e32 v1, vcc, v1, v12
	v_addc_co_u32_e32 v12, vcc, 0, v13, vcc
	v_mul_lo_u32 v14, s49, v1
	v_mul_lo_u32 v15, s48, v12
	v_mad_u64_u32 v[12:13], s[2:3], s48, v1, 0
	v_add3_u32 v1, v13, v15, v14
	v_sub_u32_e32 v13, v18, v1
	v_mov_b32_e32 v14, s49
	v_sub_co_u32_e32 v12, vcc, v19, v12
	v_subb_co_u32_e64 v13, s[2:3], v13, v14, vcc
	v_subrev_co_u32_e64 v15, s[2:3], s48, v12
	v_subbrev_co_u32_e64 v16, s[4:5], 0, v13, s[2:3]
	v_cmp_le_u32_e64 s[4:5], s49, v16
	v_cndmask_b32_e64 v19, 0, -1, s[4:5]
	v_cmp_le_u32_e64 s[4:5], s48, v15
	v_subb_co_u32_e64 v13, s[2:3], v13, v14, s[2:3]
	v_cndmask_b32_e64 v25, 0, -1, s[4:5]
	v_cmp_eq_u32_e64 s[4:5], s49, v16
	v_subrev_co_u32_e64 v14, s[2:3], s48, v15
	v_cndmask_b32_e64 v19, v19, v25, s[4:5]
	v_subbrev_co_u32_e64 v13, s[2:3], 0, v13, s[2:3]
	v_subb_co_u32_e32 v1, vcc, v18, v1, vcc
	v_cmp_ne_u32_e64 s[2:3], 0, v19
	v_cmp_le_u32_e32 vcc, s49, v1
	v_cndmask_b32_e64 v13, v16, v13, s[2:3]
	v_cndmask_b32_e64 v16, 0, -1, vcc
	v_cmp_le_u32_e32 vcc, s48, v12
	v_cndmask_b32_e64 v18, 0, -1, vcc
	v_cmp_eq_u32_e32 vcc, s49, v1
	v_cndmask_b32_e32 v16, v16, v18, vcc
	v_cmp_ne_u32_e32 vcc, 0, v16
	v_cndmask_b32_e32 v1, v1, v13, vcc
	v_cndmask_b32_e64 v13, v15, v14, s[2:3]
	v_cndmask_b32_e32 v12, v12, v13, vcc
	v_xor_b32_e32 v12, v12, v17
	v_xor_b32_e32 v1, v1, v17
	v_sub_co_u32_e32 v12, vcc, v12, v17
	v_subb_co_u32_e32 v13, vcc, v1, v17, vcc
                                        ; implicit-def: $vgpr14_vgpr15
.LBB26_33:                              ;   in Loop: Header=BB26_11 Depth=1
	s_andn2_saveexec_b64 s[2:3], s[6:7]
	s_cbranch_execz .LBB26_35
; %bb.34:                               ;   in Loop: Header=BB26_11 Depth=1
	v_cvt_f32_u32_e32 v1, s22
	s_sub_i32 s4, 0, s22
	v_mov_b32_e32 v13, v24
	v_rcp_iflag_f32_e32 v1, v1
	v_mul_f32_e32 v1, 0x4f7ffffe, v1
	v_cvt_u32_f32_e32 v1, v1
	v_mul_lo_u32 v12, s4, v1
	v_mul_hi_u32 v12, v1, v12
	v_add_u32_e32 v1, v1, v12
	v_mul_hi_u32 v1, v14, v1
	v_mul_lo_u32 v1, v1, s22
	v_sub_u32_e32 v1, v14, v1
	v_subrev_u32_e32 v12, s22, v1
	v_cmp_le_u32_e32 vcc, s22, v1
	v_cndmask_b32_e32 v1, v1, v12, vcc
	v_subrev_u32_e32 v12, s22, v1
	v_cmp_le_u32_e32 vcc, s22, v1
	v_cndmask_b32_e32 v12, v1, v12, vcc
.LBB26_35:                              ;   in Loop: Header=BB26_11 Depth=1
	s_or_b64 exec, exec, s[2:3]
                                        ; kill: def $vgpr1 killed $sgpr0 killed $exec
	s_and_b64 vcc, exec, s[0:1]
	s_cbranch_vccnz .LBB26_29
.LBB26_36:                              ;   in Loop: Header=BB26_11 Depth=1
	v_mov_b32_e32 v1, s76
	v_add_co_u32_e32 v14, vcc, s75, v0
	v_addc_co_u32_e32 v15, vcc, 0, v1, vcc
	v_mul_lo_u32 v1, s30, v31
	v_mul_lo_u32 v25, s31, v30
	v_mad_u64_u32 v[36:37], s[2:3], s30, v30, v[14:15]
	v_add3_u32 v37, v25, v37, v1
	v_or_b32_e32 v25, s23, v37
	v_cmp_ne_u64_e32 vcc, 0, v[24:25]
                                        ; kill: def $vgpr14_vgpr15 killed $sgpr0_sgpr1 killed $exec
	s_and_saveexec_b64 s[2:3], vcc
	s_xor_b64 s[6:7], exec, s[2:3]
	s_cbranch_execz .LBB26_38
; %bb.37:                               ;   in Loop: Header=BB26_11 Depth=1
	s_ashr_i32 s2, s23, 31
	s_add_u32 s4, s22, s2
	s_mov_b32 s3, s2
	s_addc_u32 s5, s23, s2
	s_xor_b64 s[48:49], s[4:5], s[2:3]
	v_cvt_f32_u32_e32 v1, s48
	v_cvt_f32_u32_e32 v14, s49
	s_sub_u32 s2, 0, s48
	s_subb_u32 s3, 0, s49
	v_mac_f32_e32 v1, 0x4f800000, v14
	v_rcp_f32_e32 v1, v1
	v_mul_f32_e32 v1, 0x5f7ffffc, v1
	v_mul_f32_e32 v14, 0x2f800000, v1
	v_trunc_f32_e32 v14, v14
	v_mac_f32_e32 v1, 0xcf800000, v14
	v_cvt_u32_f32_e32 v14, v14
	v_cvt_u32_f32_e32 v1, v1
	v_mul_lo_u32 v15, s2, v14
	v_mul_hi_u32 v38, s2, v1
	v_mul_lo_u32 v25, s3, v1
	v_add_u32_e32 v15, v38, v15
	v_mul_lo_u32 v39, s2, v1
	v_add_u32_e32 v15, v15, v25
	v_mul_lo_u32 v38, v1, v15
	v_mul_hi_u32 v40, v1, v39
	v_mul_hi_u32 v25, v1, v15
	v_add_co_u32_e32 v38, vcc, v40, v38
	v_addc_co_u32_e32 v25, vcc, 0, v25, vcc
	v_mul_hi_u32 v41, v14, v39
	v_mul_lo_u32 v39, v14, v39
	v_add_co_u32_e32 v38, vcc, v38, v39
	v_mul_hi_u32 v40, v14, v15
	v_addc_co_u32_e32 v25, vcc, v25, v41, vcc
	v_addc_co_u32_e32 v38, vcc, 0, v40, vcc
	v_mul_lo_u32 v15, v14, v15
	v_add_co_u32_e32 v15, vcc, v25, v15
	v_addc_co_u32_e32 v25, vcc, 0, v38, vcc
	v_add_co_u32_e32 v1, vcc, v1, v15
	v_addc_co_u32_e32 v14, vcc, v14, v25, vcc
	v_mul_lo_u32 v15, s2, v14
	v_mul_hi_u32 v25, s2, v1
	v_add_u32_e32 v15, v25, v15
	v_mul_lo_u32 v25, s3, v1
	v_add_u32_e32 v15, v15, v25
	v_mul_lo_u32 v38, s2, v1
	v_mul_hi_u32 v39, v14, v38
	v_mul_lo_u32 v40, v14, v38
	v_mul_lo_u32 v42, v1, v15
	v_mul_hi_u32 v38, v1, v38
	v_mul_hi_u32 v41, v1, v15
	v_add_co_u32_e32 v38, vcc, v38, v42
	v_addc_co_u32_e32 v41, vcc, 0, v41, vcc
	v_add_co_u32_e32 v38, vcc, v38, v40
	v_mul_hi_u32 v25, v14, v15
	v_addc_co_u32_e32 v38, vcc, v41, v39, vcc
	v_addc_co_u32_e32 v25, vcc, 0, v25, vcc
	v_mul_lo_u32 v15, v14, v15
	v_add_co_u32_e32 v15, vcc, v38, v15
	v_addc_co_u32_e32 v25, vcc, 0, v25, vcc
	v_add_co_u32_e32 v1, vcc, v1, v15
	v_addc_co_u32_e32 v25, vcc, v14, v25, vcc
	v_ashrrev_i32_e32 v38, 31, v37
	v_add_co_u32_e32 v14, vcc, v36, v38
	v_addc_co_u32_e32 v15, vcc, v37, v38, vcc
	v_xor_b32_e32 v40, v14, v38
	v_xor_b32_e32 v39, v15, v38
	v_mad_u64_u32 v[14:15], s[2:3], v40, v25, 0
	v_mul_hi_u32 v36, v40, v1
	v_add_co_u32_e32 v41, vcc, v36, v14
	v_addc_co_u32_e32 v42, vcc, 0, v15, vcc
	v_mad_u64_u32 v[36:37], s[2:3], v39, v1, 0
	v_add_co_u32_e32 v1, vcc, v41, v36
	v_mad_u64_u32 v[14:15], s[2:3], v39, v25, 0
	v_addc_co_u32_e32 v1, vcc, v42, v37, vcc
	v_addc_co_u32_e32 v15, vcc, 0, v15, vcc
	v_add_co_u32_e32 v1, vcc, v1, v14
	v_addc_co_u32_e32 v14, vcc, 0, v15, vcc
	v_mul_lo_u32 v25, s49, v1
	v_mul_lo_u32 v36, s48, v14
	v_mad_u64_u32 v[14:15], s[2:3], s48, v1, 0
	v_add3_u32 v1, v15, v36, v25
	v_sub_u32_e32 v15, v39, v1
	v_mov_b32_e32 v25, s49
	v_sub_co_u32_e32 v14, vcc, v40, v14
	v_subb_co_u32_e64 v15, s[2:3], v15, v25, vcc
	v_subrev_co_u32_e64 v36, s[2:3], s48, v14
	v_subbrev_co_u32_e64 v37, s[4:5], 0, v15, s[2:3]
	v_cmp_le_u32_e64 s[4:5], s49, v37
	v_cndmask_b32_e64 v40, 0, -1, s[4:5]
	v_cmp_le_u32_e64 s[4:5], s48, v36
	v_subb_co_u32_e64 v15, s[2:3], v15, v25, s[2:3]
	v_cndmask_b32_e64 v41, 0, -1, s[4:5]
	v_cmp_eq_u32_e64 s[4:5], s49, v37
	v_subrev_co_u32_e64 v25, s[2:3], s48, v36
	v_cndmask_b32_e64 v40, v40, v41, s[4:5]
	v_subbrev_co_u32_e64 v15, s[2:3], 0, v15, s[2:3]
	v_subb_co_u32_e32 v1, vcc, v39, v1, vcc
	v_cmp_ne_u32_e64 s[2:3], 0, v40
	v_cmp_le_u32_e32 vcc, s49, v1
	v_cndmask_b32_e64 v15, v37, v15, s[2:3]
	v_cndmask_b32_e64 v37, 0, -1, vcc
	v_cmp_le_u32_e32 vcc, s48, v14
	v_cndmask_b32_e64 v39, 0, -1, vcc
	v_cmp_eq_u32_e32 vcc, s49, v1
	v_cndmask_b32_e32 v37, v37, v39, vcc
	v_cmp_ne_u32_e32 vcc, 0, v37
	v_cndmask_b32_e32 v1, v1, v15, vcc
	v_cndmask_b32_e64 v15, v36, v25, s[2:3]
	v_cndmask_b32_e32 v14, v14, v15, vcc
	v_xor_b32_e32 v14, v14, v38
	v_xor_b32_e32 v1, v1, v38
	v_sub_co_u32_e32 v14, vcc, v14, v38
	v_subb_co_u32_e32 v15, vcc, v1, v38, vcc
                                        ; implicit-def: $vgpr36_vgpr37
.LBB26_38:                              ;   in Loop: Header=BB26_11 Depth=1
	s_andn2_saveexec_b64 s[2:3], s[6:7]
	s_cbranch_execz .LBB26_40
; %bb.39:                               ;   in Loop: Header=BB26_11 Depth=1
	v_cvt_f32_u32_e32 v1, s22
	s_sub_i32 s4, 0, s22
	v_mov_b32_e32 v15, v24
	v_rcp_iflag_f32_e32 v1, v1
	v_mul_f32_e32 v1, 0x4f7ffffe, v1
	v_cvt_u32_f32_e32 v1, v1
	v_mul_lo_u32 v14, s4, v1
	v_mul_hi_u32 v14, v1, v14
	v_add_u32_e32 v1, v1, v14
	v_mul_hi_u32 v1, v36, v1
	v_mul_lo_u32 v1, v1, s22
	v_sub_u32_e32 v1, v36, v1
	v_subrev_u32_e32 v14, s22, v1
	v_cmp_le_u32_e32 vcc, s22, v1
	v_cndmask_b32_e32 v1, v1, v14, vcc
	v_subrev_u32_e32 v14, s22, v1
	v_cmp_le_u32_e32 vcc, s22, v1
	v_cndmask_b32_e32 v14, v1, v14, vcc
.LBB26_40:                              ;   in Loop: Header=BB26_11 Depth=1
	s_or_b64 exec, exec, s[2:3]
	s_and_b64 vcc, exec, s[0:1]
	s_cbranch_vccnz .LBB26_30
.LBB26_41:                              ;   in Loop: Header=BB26_11 Depth=1
	v_mov_b32_e32 v1, s72
	v_add_co_u32_e32 v16, vcc, s71, v0
	v_addc_co_u32_e32 v17, vcc, 0, v1, vcc
	v_mul_lo_u32 v1, s30, v33
	v_mul_lo_u32 v25, s31, v32
	v_mad_u64_u32 v[36:37], s[2:3], s30, v32, v[16:17]
	v_add3_u32 v37, v25, v37, v1
	v_or_b32_e32 v25, s23, v37
	v_cmp_ne_u64_e32 vcc, 0, v[24:25]
                                        ; kill: def $vgpr16_vgpr17 killed $sgpr0_sgpr1 killed $exec
	s_and_saveexec_b64 s[2:3], vcc
	s_xor_b64 s[6:7], exec, s[2:3]
	s_cbranch_execz .LBB26_43
; %bb.42:                               ;   in Loop: Header=BB26_11 Depth=1
	s_ashr_i32 s2, s23, 31
	s_add_u32 s4, s22, s2
	s_mov_b32 s3, s2
	s_addc_u32 s5, s23, s2
	s_xor_b64 s[48:49], s[4:5], s[2:3]
	v_cvt_f32_u32_e32 v1, s48
	v_cvt_f32_u32_e32 v16, s49
	s_sub_u32 s2, 0, s48
	s_subb_u32 s3, 0, s49
	v_mac_f32_e32 v1, 0x4f800000, v16
	v_rcp_f32_e32 v1, v1
	v_mul_f32_e32 v1, 0x5f7ffffc, v1
	v_mul_f32_e32 v16, 0x2f800000, v1
	v_trunc_f32_e32 v16, v16
	v_mac_f32_e32 v1, 0xcf800000, v16
	v_cvt_u32_f32_e32 v16, v16
	v_cvt_u32_f32_e32 v1, v1
	v_mul_lo_u32 v17, s2, v16
	v_mul_hi_u32 v38, s2, v1
	v_mul_lo_u32 v25, s3, v1
	v_add_u32_e32 v17, v38, v17
	v_mul_lo_u32 v39, s2, v1
	v_add_u32_e32 v17, v17, v25
	v_mul_lo_u32 v38, v1, v17
	v_mul_hi_u32 v40, v1, v39
	v_mul_hi_u32 v25, v1, v17
	v_add_co_u32_e32 v38, vcc, v40, v38
	v_addc_co_u32_e32 v25, vcc, 0, v25, vcc
	v_mul_hi_u32 v41, v16, v39
	v_mul_lo_u32 v39, v16, v39
	v_add_co_u32_e32 v38, vcc, v38, v39
	v_mul_hi_u32 v40, v16, v17
	v_addc_co_u32_e32 v25, vcc, v25, v41, vcc
	v_addc_co_u32_e32 v38, vcc, 0, v40, vcc
	v_mul_lo_u32 v17, v16, v17
	v_add_co_u32_e32 v17, vcc, v25, v17
	v_addc_co_u32_e32 v25, vcc, 0, v38, vcc
	v_add_co_u32_e32 v1, vcc, v1, v17
	v_addc_co_u32_e32 v16, vcc, v16, v25, vcc
	v_mul_lo_u32 v17, s2, v16
	v_mul_hi_u32 v25, s2, v1
	v_add_u32_e32 v17, v25, v17
	v_mul_lo_u32 v25, s3, v1
	v_add_u32_e32 v17, v17, v25
	v_mul_lo_u32 v38, s2, v1
	v_mul_hi_u32 v39, v16, v38
	v_mul_lo_u32 v40, v16, v38
	v_mul_lo_u32 v42, v1, v17
	v_mul_hi_u32 v38, v1, v38
	v_mul_hi_u32 v41, v1, v17
	v_add_co_u32_e32 v38, vcc, v38, v42
	v_addc_co_u32_e32 v41, vcc, 0, v41, vcc
	v_add_co_u32_e32 v38, vcc, v38, v40
	v_mul_hi_u32 v25, v16, v17
	v_addc_co_u32_e32 v38, vcc, v41, v39, vcc
	v_addc_co_u32_e32 v25, vcc, 0, v25, vcc
	v_mul_lo_u32 v17, v16, v17
	v_add_co_u32_e32 v17, vcc, v38, v17
	v_addc_co_u32_e32 v25, vcc, 0, v25, vcc
	v_add_co_u32_e32 v1, vcc, v1, v17
	v_addc_co_u32_e32 v25, vcc, v16, v25, vcc
	v_ashrrev_i32_e32 v38, 31, v37
	v_add_co_u32_e32 v16, vcc, v36, v38
	v_addc_co_u32_e32 v17, vcc, v37, v38, vcc
	v_xor_b32_e32 v40, v16, v38
	v_xor_b32_e32 v39, v17, v38
	v_mad_u64_u32 v[16:17], s[2:3], v40, v25, 0
	v_mul_hi_u32 v36, v40, v1
	v_add_co_u32_e32 v41, vcc, v36, v16
	v_addc_co_u32_e32 v42, vcc, 0, v17, vcc
	v_mad_u64_u32 v[36:37], s[2:3], v39, v1, 0
	v_add_co_u32_e32 v1, vcc, v41, v36
	v_mad_u64_u32 v[16:17], s[2:3], v39, v25, 0
	v_addc_co_u32_e32 v1, vcc, v42, v37, vcc
	v_addc_co_u32_e32 v17, vcc, 0, v17, vcc
	v_add_co_u32_e32 v1, vcc, v1, v16
	v_addc_co_u32_e32 v16, vcc, 0, v17, vcc
	v_mul_lo_u32 v25, s49, v1
	v_mul_lo_u32 v36, s48, v16
	v_mad_u64_u32 v[16:17], s[2:3], s48, v1, 0
	v_add3_u32 v1, v17, v36, v25
	v_sub_u32_e32 v17, v39, v1
	v_mov_b32_e32 v25, s49
	v_sub_co_u32_e32 v16, vcc, v40, v16
	v_subb_co_u32_e64 v17, s[2:3], v17, v25, vcc
	v_subrev_co_u32_e64 v36, s[2:3], s48, v16
	v_subbrev_co_u32_e64 v37, s[4:5], 0, v17, s[2:3]
	v_cmp_le_u32_e64 s[4:5], s49, v37
	v_cndmask_b32_e64 v40, 0, -1, s[4:5]
	v_cmp_le_u32_e64 s[4:5], s48, v36
	v_subb_co_u32_e64 v17, s[2:3], v17, v25, s[2:3]
	v_cndmask_b32_e64 v41, 0, -1, s[4:5]
	v_cmp_eq_u32_e64 s[4:5], s49, v37
	v_subrev_co_u32_e64 v25, s[2:3], s48, v36
	v_cndmask_b32_e64 v40, v40, v41, s[4:5]
	v_subbrev_co_u32_e64 v17, s[2:3], 0, v17, s[2:3]
	v_subb_co_u32_e32 v1, vcc, v39, v1, vcc
	v_cmp_ne_u32_e64 s[2:3], 0, v40
	v_cmp_le_u32_e32 vcc, s49, v1
	v_cndmask_b32_e64 v17, v37, v17, s[2:3]
	v_cndmask_b32_e64 v37, 0, -1, vcc
	v_cmp_le_u32_e32 vcc, s48, v16
	v_cndmask_b32_e64 v39, 0, -1, vcc
	v_cmp_eq_u32_e32 vcc, s49, v1
	v_cndmask_b32_e32 v37, v37, v39, vcc
	v_cmp_ne_u32_e32 vcc, 0, v37
	v_cndmask_b32_e32 v1, v1, v17, vcc
	v_cndmask_b32_e64 v17, v36, v25, s[2:3]
	v_cndmask_b32_e32 v16, v16, v17, vcc
	v_xor_b32_e32 v16, v16, v38
	v_xor_b32_e32 v1, v1, v38
	v_sub_co_u32_e32 v16, vcc, v16, v38
	v_subb_co_u32_e32 v17, vcc, v1, v38, vcc
                                        ; implicit-def: $vgpr36_vgpr37
.LBB26_43:                              ;   in Loop: Header=BB26_11 Depth=1
	s_andn2_saveexec_b64 s[2:3], s[6:7]
	s_cbranch_execz .LBB26_45
; %bb.44:                               ;   in Loop: Header=BB26_11 Depth=1
	v_cvt_f32_u32_e32 v1, s22
	s_sub_i32 s4, 0, s22
	v_mov_b32_e32 v17, v24
	v_rcp_iflag_f32_e32 v1, v1
	v_mul_f32_e32 v1, 0x4f7ffffe, v1
	v_cvt_u32_f32_e32 v1, v1
	v_mul_lo_u32 v16, s4, v1
	v_mul_hi_u32 v16, v1, v16
	v_add_u32_e32 v1, v1, v16
	v_mul_hi_u32 v1, v36, v1
	v_mul_lo_u32 v1, v1, s22
	v_sub_u32_e32 v1, v36, v1
	v_subrev_u32_e32 v16, s22, v1
	v_cmp_le_u32_e32 vcc, s22, v1
	v_cndmask_b32_e32 v1, v1, v16, vcc
	v_subrev_u32_e32 v16, s22, v1
	v_cmp_le_u32_e32 vcc, s22, v1
	v_cndmask_b32_e32 v16, v1, v16, vcc
.LBB26_45:                              ;   in Loop: Header=BB26_11 Depth=1
	s_or_b64 exec, exec, s[2:3]
	s_and_b64 vcc, exec, s[0:1]
	s_cbranch_vccnz .LBB26_10
.LBB26_46:                              ;   in Loop: Header=BB26_11 Depth=1
	v_mov_b32_e32 v1, s74
	v_add_co_u32_e32 v18, vcc, s73, v0
	v_addc_co_u32_e32 v19, vcc, 0, v1, vcc
	v_mul_lo_u32 v1, s30, v35
	v_mul_lo_u32 v25, s31, v34
	v_mad_u64_u32 v[36:37], s[0:1], s30, v34, v[18:19]
	v_add3_u32 v37, v25, v37, v1
	v_or_b32_e32 v25, s23, v37
	v_cmp_ne_u64_e32 vcc, 0, v[24:25]
                                        ; kill: def $vgpr18_vgpr19 killed $sgpr0_sgpr1 killed $exec
	s_and_saveexec_b64 s[0:1], vcc
	s_xor_b64 s[4:5], exec, s[0:1]
	s_cbranch_execz .LBB26_48
; %bb.47:                               ;   in Loop: Header=BB26_11 Depth=1
	s_ashr_i32 s0, s23, 31
	s_add_u32 s2, s22, s0
	s_mov_b32 s1, s0
	s_addc_u32 s3, s23, s0
	s_xor_b64 s[6:7], s[2:3], s[0:1]
	v_cvt_f32_u32_e32 v1, s6
	v_cvt_f32_u32_e32 v18, s7
	s_sub_u32 s0, 0, s6
	s_subb_u32 s1, 0, s7
	v_mac_f32_e32 v1, 0x4f800000, v18
	v_rcp_f32_e32 v1, v1
	v_mul_f32_e32 v1, 0x5f7ffffc, v1
	v_mul_f32_e32 v18, 0x2f800000, v1
	v_trunc_f32_e32 v18, v18
	v_mac_f32_e32 v1, 0xcf800000, v18
	v_cvt_u32_f32_e32 v18, v18
	v_cvt_u32_f32_e32 v1, v1
	v_mul_lo_u32 v19, s0, v18
	v_mul_hi_u32 v38, s0, v1
	v_mul_lo_u32 v25, s1, v1
	v_add_u32_e32 v19, v38, v19
	v_mul_lo_u32 v39, s0, v1
	v_add_u32_e32 v19, v19, v25
	v_mul_lo_u32 v38, v1, v19
	v_mul_hi_u32 v40, v1, v39
	v_mul_hi_u32 v25, v1, v19
	v_add_co_u32_e32 v38, vcc, v40, v38
	v_addc_co_u32_e32 v25, vcc, 0, v25, vcc
	v_mul_hi_u32 v41, v18, v39
	v_mul_lo_u32 v39, v18, v39
	v_add_co_u32_e32 v38, vcc, v38, v39
	v_mul_hi_u32 v40, v18, v19
	v_addc_co_u32_e32 v25, vcc, v25, v41, vcc
	v_addc_co_u32_e32 v38, vcc, 0, v40, vcc
	v_mul_lo_u32 v19, v18, v19
	v_add_co_u32_e32 v19, vcc, v25, v19
	v_addc_co_u32_e32 v25, vcc, 0, v38, vcc
	v_add_co_u32_e32 v1, vcc, v1, v19
	v_addc_co_u32_e32 v18, vcc, v18, v25, vcc
	v_mul_lo_u32 v19, s0, v18
	v_mul_hi_u32 v25, s0, v1
	v_add_u32_e32 v19, v25, v19
	v_mul_lo_u32 v25, s1, v1
	v_add_u32_e32 v19, v19, v25
	v_mul_lo_u32 v38, s0, v1
	v_mul_hi_u32 v39, v18, v38
	v_mul_lo_u32 v40, v18, v38
	v_mul_lo_u32 v42, v1, v19
	v_mul_hi_u32 v38, v1, v38
	v_mul_hi_u32 v41, v1, v19
	v_add_co_u32_e32 v38, vcc, v38, v42
	v_addc_co_u32_e32 v41, vcc, 0, v41, vcc
	v_add_co_u32_e32 v38, vcc, v38, v40
	v_mul_hi_u32 v25, v18, v19
	v_addc_co_u32_e32 v38, vcc, v41, v39, vcc
	v_addc_co_u32_e32 v25, vcc, 0, v25, vcc
	v_mul_lo_u32 v19, v18, v19
	v_add_co_u32_e32 v19, vcc, v38, v19
	v_addc_co_u32_e32 v25, vcc, 0, v25, vcc
	v_add_co_u32_e32 v1, vcc, v1, v19
	v_addc_co_u32_e32 v25, vcc, v18, v25, vcc
	v_ashrrev_i32_e32 v38, 31, v37
	v_add_co_u32_e32 v18, vcc, v36, v38
	v_addc_co_u32_e32 v19, vcc, v37, v38, vcc
	v_xor_b32_e32 v40, v18, v38
	v_xor_b32_e32 v39, v19, v38
	v_mad_u64_u32 v[18:19], s[0:1], v40, v25, 0
	v_mul_hi_u32 v36, v40, v1
	v_add_co_u32_e32 v41, vcc, v36, v18
	v_addc_co_u32_e32 v42, vcc, 0, v19, vcc
	v_mad_u64_u32 v[36:37], s[0:1], v39, v1, 0
	v_add_co_u32_e32 v1, vcc, v41, v36
	v_mad_u64_u32 v[18:19], s[0:1], v39, v25, 0
	v_addc_co_u32_e32 v1, vcc, v42, v37, vcc
	v_addc_co_u32_e32 v19, vcc, 0, v19, vcc
	v_add_co_u32_e32 v1, vcc, v1, v18
	v_addc_co_u32_e32 v18, vcc, 0, v19, vcc
	v_mul_lo_u32 v25, s7, v1
	v_mul_lo_u32 v36, s6, v18
	v_mad_u64_u32 v[18:19], s[0:1], s6, v1, 0
	v_add3_u32 v1, v19, v36, v25
	v_sub_u32_e32 v19, v39, v1
	v_mov_b32_e32 v25, s7
	v_sub_co_u32_e32 v18, vcc, v40, v18
	v_subb_co_u32_e64 v19, s[0:1], v19, v25, vcc
	v_subrev_co_u32_e64 v36, s[0:1], s6, v18
	v_subbrev_co_u32_e64 v37, s[2:3], 0, v19, s[0:1]
	v_cmp_le_u32_e64 s[2:3], s7, v37
	v_cndmask_b32_e64 v40, 0, -1, s[2:3]
	v_cmp_le_u32_e64 s[2:3], s6, v36
	v_subb_co_u32_e64 v19, s[0:1], v19, v25, s[0:1]
	v_cndmask_b32_e64 v41, 0, -1, s[2:3]
	v_cmp_eq_u32_e64 s[2:3], s7, v37
	v_subrev_co_u32_e64 v25, s[0:1], s6, v36
	v_cndmask_b32_e64 v40, v40, v41, s[2:3]
	v_subbrev_co_u32_e64 v19, s[0:1], 0, v19, s[0:1]
	v_subb_co_u32_e32 v1, vcc, v39, v1, vcc
	v_cmp_ne_u32_e64 s[0:1], 0, v40
	v_cmp_le_u32_e32 vcc, s7, v1
	v_cndmask_b32_e64 v19, v37, v19, s[0:1]
	v_cndmask_b32_e64 v37, 0, -1, vcc
	v_cmp_le_u32_e32 vcc, s6, v18
	v_cndmask_b32_e64 v39, 0, -1, vcc
	v_cmp_eq_u32_e32 vcc, s7, v1
	v_cndmask_b32_e32 v37, v37, v39, vcc
	v_cmp_ne_u32_e32 vcc, 0, v37
	v_cndmask_b32_e32 v1, v1, v19, vcc
	v_cndmask_b32_e64 v19, v36, v25, s[0:1]
	v_cndmask_b32_e32 v18, v18, v19, vcc
	v_xor_b32_e32 v18, v18, v38
	v_xor_b32_e32 v1, v1, v38
	v_sub_co_u32_e32 v18, vcc, v18, v38
	v_subb_co_u32_e32 v19, vcc, v1, v38, vcc
                                        ; implicit-def: $vgpr36_vgpr37
.LBB26_48:                              ;   in Loop: Header=BB26_11 Depth=1
	s_andn2_saveexec_b64 s[0:1], s[4:5]
	s_cbranch_execz .LBB26_9
; %bb.49:                               ;   in Loop: Header=BB26_11 Depth=1
	v_cvt_f32_u32_e32 v1, s22
	s_sub_i32 s2, 0, s22
	v_mov_b32_e32 v19, v24
	v_rcp_iflag_f32_e32 v1, v1
	v_mul_f32_e32 v1, 0x4f7ffffe, v1
	v_cvt_u32_f32_e32 v1, v1
	v_mul_lo_u32 v18, s2, v1
	v_mul_hi_u32 v18, v1, v18
	v_add_u32_e32 v1, v1, v18
	v_mul_hi_u32 v1, v36, v1
	v_mul_lo_u32 v1, v1, s22
	v_sub_u32_e32 v1, v36, v1
	v_subrev_u32_e32 v18, s22, v1
	v_cmp_le_u32_e32 vcc, s22, v1
	v_cndmask_b32_e32 v1, v1, v18, vcc
	v_subrev_u32_e32 v18, s22, v1
	v_cmp_le_u32_e32 vcc, s22, v1
	v_cndmask_b32_e32 v18, v1, v18, vcc
	s_branch .LBB26_9
.LBB26_50:
	s_or_b64 exec, exec, s[44:45]
	v_mad_u64_u32 v[2:3], s[0:1], v22, s20, v[2:3]
	v_mul_lo_u32 v0, v22, s21
	v_mul_lo_u32 v1, v23, s20
	v_cmp_ne_u64_e32 vcc, v[20:21], v[22:23]
	v_add3_u32 v3, v1, v3, v0
	s_and_b64 s[0:1], vcc, exec
	s_or_saveexec_b64 s[2:3], s[26:27]
	v_pk_mov_b32 v[0:1], s[30:31], s[30:31] op_sel:[0,1]
	s_xor_b64 exec, exec, s[2:3]
	s_cbranch_execz .LBB26_7
.LBB26_51:
	s_sub_u32 s4, 0, s8
	s_subb_u32 s5, 0, s9
	v_pk_mov_b32 v[0:1], s[4:5], s[4:5] op_sel:[0,1]
	s_or_b64 s[0:1], s[0:1], exec
	s_or_b64 exec, exec, s[2:3]
	s_and_b64 exec, exec, s[0:1]
	s_cbranch_execz .LBB26_64
.LBB26_52:
	v_cvt_f32_u32_e32 v4, s8
	s_sub_u32 s30, 0, s18
	v_cndmask_b32_e64 v6, 0, 1, s[24:25]
	s_subb_u32 s31, 0, s19
	v_rcp_iflag_f32_e32 v5, v4
	s_sub_i32 s2, 0, s8
	v_cmp_ne_u32_e64 s[0:1], 1, v6
	s_mov_b64 s[6:7], 0
	v_mul_f32_e32 v5, 0x4f7ffffe, v5
	v_cvt_u32_f32_e32 v5, v5
	v_mov_b32_e32 v4, 0
	s_ashr_i32 s18, s9, 31
	s_ashr_i32 s24, s23, 31
	v_mul_lo_u32 v6, s2, v5
	v_mul_hi_u32 v6, v5, v6
	v_add_u32_e32 v12, v5, v6
	s_branch .LBB26_55
.LBB26_53:                              ;   in Loop: Header=BB26_55 Depth=1
	s_or_b64 exec, exec, s[2:3]
	v_ashrrev_i32_e32 v5, 31, v11
	v_and_b32_e32 v9, s23, v5
	v_and_b32_e32 v5, s22, v5
	v_add_co_u32_e32 v8, vcc, v5, v10
	v_addc_co_u32_e32 v9, vcc, v9, v11, vcc
	v_mov_b32_e32 v5, s23
	v_sub_co_u32_e32 v10, vcc, s22, v8
	v_subb_co_u32_e32 v5, vcc, v5, v9, vcc
	v_cmp_gt_i64_e32 vcc, s[16:17], v[8:9]
	v_cndmask_b32_e32 v9, v5, v9, vcc
	v_cndmask_b32_e32 v8, v10, v8, vcc
.LBB26_54:                              ;   in Loop: Header=BB26_55 Depth=1
	v_pk_mov_b32 v[10:11], s[12:13], s[12:13] op_sel:[0,1]
	v_mad_u64_u32 v[10:11], s[2:3], v6, s16, v[10:11]
	v_mul_lo_u32 v5, v6, s17
	v_mul_lo_u32 v6, v7, s16
	v_add3_u32 v5, v6, v11, v5
	v_add_co_u32_e32 v6, vcc, v10, v8
	v_addc_co_u32_e32 v7, vcc, v5, v9, vcc
	global_load_ubyte v5, v[6:7], off
	v_mov_b32_e32 v7, s15
	v_add_co_u32_e32 v6, vcc, s14, v2
	v_addc_co_u32_e32 v7, vcc, v7, v3, vcc
	v_mov_b32_e32 v8, s21
	v_add_co_u32_e32 v2, vcc, s20, v2
	v_addc_co_u32_e32 v3, vcc, v3, v8, vcc
	v_cmp_le_i64_e32 vcc, s[10:11], v[2:3]
	s_or_b64 s[6:7], vcc, s[6:7]
	s_waitcnt vmcnt(0)
	global_store_byte v[6:7], v5, off
	s_andn2_b64 exec, exec, s[6:7]
	s_cbranch_execz .LBB26_64
.LBB26_55:                              ; =>This Inner Loop Header: Depth=1
	v_or_b32_e32 v5, s9, v3
	v_cmp_ne_u64_e32 vcc, 0, v[4:5]
                                        ; implicit-def: $vgpr6_vgpr7
	s_and_saveexec_b64 s[2:3], vcc
	s_xor_b64 s[4:5], exec, s[2:3]
	s_cbranch_execnz .LBB26_58
; %bb.56:                               ;   in Loop: Header=BB26_55 Depth=1
	s_andn2_saveexec_b64 s[2:3], s[4:5]
	s_cbranch_execnz .LBB26_59
.LBB26_57:                              ;   in Loop: Header=BB26_55 Depth=1
	s_or_b64 exec, exec, s[2:3]
	s_and_b64 vcc, exec, s[0:1]
	v_pk_mov_b32 v[8:9], 0, 0
	s_cbranch_vccnz .LBB26_54
	s_branch .LBB26_60
.LBB26_58:                              ;   in Loop: Header=BB26_55 Depth=1
	s_add_u32 s2, s8, s18
	s_mov_b32 s19, s18
	s_addc_u32 s3, s9, s18
	s_xor_b64 s[26:27], s[2:3], s[18:19]
	v_cvt_f32_u32_e32 v5, s26
	v_cvt_f32_u32_e32 v6, s27
	s_sub_u32 s2, 0, s26
	s_subb_u32 s3, 0, s27
	v_mac_f32_e32 v5, 0x4f800000, v6
	v_rcp_f32_e32 v5, v5
	v_mul_f32_e32 v5, 0x5f7ffffc, v5
	v_mul_f32_e32 v6, 0x2f800000, v5
	v_trunc_f32_e32 v6, v6
	v_mac_f32_e32 v5, 0xcf800000, v6
	v_cvt_u32_f32_e32 v6, v6
	v_cvt_u32_f32_e32 v5, v5
	v_mul_lo_u32 v7, s2, v6
	v_mul_hi_u32 v9, s2, v5
	v_mul_lo_u32 v8, s3, v5
	v_add_u32_e32 v7, v9, v7
	v_mul_lo_u32 v10, s2, v5
	v_add_u32_e32 v7, v7, v8
	v_mul_lo_u32 v9, v5, v7
	v_mul_hi_u32 v11, v5, v10
	v_mul_hi_u32 v8, v5, v7
	v_add_co_u32_e32 v9, vcc, v11, v9
	v_addc_co_u32_e32 v8, vcc, 0, v8, vcc
	v_mul_hi_u32 v13, v6, v10
	v_mul_lo_u32 v10, v6, v10
	v_add_co_u32_e32 v9, vcc, v9, v10
	v_mul_hi_u32 v11, v6, v7
	v_addc_co_u32_e32 v8, vcc, v8, v13, vcc
	v_addc_co_u32_e32 v9, vcc, 0, v11, vcc
	v_mul_lo_u32 v7, v6, v7
	v_add_co_u32_e32 v7, vcc, v8, v7
	v_addc_co_u32_e32 v8, vcc, 0, v9, vcc
	v_add_co_u32_e32 v5, vcc, v5, v7
	v_addc_co_u32_e32 v6, vcc, v6, v8, vcc
	v_mul_lo_u32 v7, s2, v6
	v_mul_hi_u32 v8, s2, v5
	v_add_u32_e32 v7, v8, v7
	v_mul_lo_u32 v8, s3, v5
	v_add_u32_e32 v7, v7, v8
	v_mul_lo_u32 v9, s2, v5
	v_mul_hi_u32 v10, v6, v9
	v_mul_lo_u32 v11, v6, v9
	v_mul_lo_u32 v14, v5, v7
	v_mul_hi_u32 v9, v5, v9
	v_mul_hi_u32 v13, v5, v7
	v_add_co_u32_e32 v9, vcc, v9, v14
	v_addc_co_u32_e32 v13, vcc, 0, v13, vcc
	v_add_co_u32_e32 v9, vcc, v9, v11
	v_mul_hi_u32 v8, v6, v7
	v_addc_co_u32_e32 v9, vcc, v13, v10, vcc
	v_addc_co_u32_e32 v8, vcc, 0, v8, vcc
	v_mul_lo_u32 v7, v6, v7
	v_add_co_u32_e32 v7, vcc, v9, v7
	v_addc_co_u32_e32 v8, vcc, 0, v8, vcc
	v_add_co_u32_e32 v5, vcc, v5, v7
	v_addc_co_u32_e32 v8, vcc, v6, v8, vcc
	v_ashrrev_i32_e32 v10, 31, v3
	v_add_co_u32_e32 v6, vcc, v2, v10
	v_addc_co_u32_e32 v7, vcc, v3, v10, vcc
	v_xor_b32_e32 v13, v6, v10
	v_xor_b32_e32 v11, v7, v10
	v_mad_u64_u32 v[6:7], s[2:3], v13, v8, 0
	v_mul_hi_u32 v9, v13, v5
	v_add_co_u32_e32 v14, vcc, v9, v6
	v_addc_co_u32_e32 v15, vcc, 0, v7, vcc
	v_mad_u64_u32 v[6:7], s[2:3], v11, v8, 0
	v_mad_u64_u32 v[8:9], s[2:3], v11, v5, 0
	v_add_co_u32_e32 v5, vcc, v14, v8
	v_addc_co_u32_e32 v5, vcc, v15, v9, vcc
	v_addc_co_u32_e32 v7, vcc, 0, v7, vcc
	v_add_co_u32_e32 v5, vcc, v5, v6
	v_addc_co_u32_e32 v8, vcc, 0, v7, vcc
	v_mul_lo_u32 v9, s27, v5
	v_mul_lo_u32 v14, s26, v8
	v_mad_u64_u32 v[6:7], s[2:3], s26, v5, 0
	v_add3_u32 v7, v7, v14, v9
	v_sub_u32_e32 v9, v11, v7
	v_mov_b32_e32 v14, s27
	v_sub_co_u32_e32 v6, vcc, v13, v6
	v_subb_co_u32_e64 v9, s[2:3], v9, v14, vcc
	v_subrev_co_u32_e64 v13, s[2:3], s26, v6
	v_subbrev_co_u32_e64 v9, s[2:3], 0, v9, s[2:3]
	v_cmp_le_u32_e64 s[2:3], s27, v9
	v_cndmask_b32_e64 v14, 0, -1, s[2:3]
	v_cmp_le_u32_e64 s[2:3], s26, v13
	v_cndmask_b32_e64 v13, 0, -1, s[2:3]
	v_cmp_eq_u32_e64 s[2:3], s27, v9
	v_cndmask_b32_e64 v9, v14, v13, s[2:3]
	v_add_co_u32_e64 v13, s[2:3], 2, v5
	v_subb_co_u32_e32 v7, vcc, v11, v7, vcc
	v_addc_co_u32_e64 v14, s[2:3], 0, v8, s[2:3]
	v_cmp_le_u32_e32 vcc, s27, v7
	v_add_co_u32_e64 v15, s[2:3], 1, v5
	v_cndmask_b32_e64 v11, 0, -1, vcc
	v_cmp_le_u32_e32 vcc, s26, v6
	v_addc_co_u32_e64 v16, s[2:3], 0, v8, s[2:3]
	v_cndmask_b32_e64 v6, 0, -1, vcc
	v_cmp_eq_u32_e32 vcc, s27, v7
	v_cmp_ne_u32_e64 s[2:3], 0, v9
	v_cndmask_b32_e32 v6, v11, v6, vcc
	v_cmp_ne_u32_e32 vcc, 0, v6
	v_cndmask_b32_e64 v7, v15, v13, s[2:3]
	v_cndmask_b32_e64 v9, v16, v14, s[2:3]
	v_cndmask_b32_e32 v5, v5, v7, vcc
	v_xor_b32_e32 v7, s18, v10
	v_cndmask_b32_e32 v6, v8, v9, vcc
	v_xor_b32_e32 v5, v5, v7
	v_xor_b32_e32 v8, v6, v7
	v_sub_co_u32_e32 v6, vcc, v5, v7
	v_subb_co_u32_e32 v7, vcc, v8, v7, vcc
	s_andn2_saveexec_b64 s[2:3], s[4:5]
	s_cbranch_execz .LBB26_57
.LBB26_59:                              ;   in Loop: Header=BB26_55 Depth=1
	v_mul_hi_u32 v5, v2, v12
	v_mul_lo_u32 v6, v5, s8
	v_sub_u32_e32 v6, v2, v6
	v_subrev_u32_e32 v7, s8, v6
	v_cmp_le_u32_e32 vcc, s8, v6
	v_cndmask_b32_e32 v6, v6, v7, vcc
	v_add_u32_e32 v7, 1, v5
	v_cndmask_b32_e32 v5, v5, v7, vcc
	v_add_u32_e32 v7, 1, v5
	v_cmp_le_u32_e32 vcc, s8, v6
	v_cndmask_b32_e32 v6, v5, v7, vcc
	v_mov_b32_e32 v7, v4
	s_or_b64 exec, exec, s[2:3]
	s_and_b64 vcc, exec, s[0:1]
	v_pk_mov_b32 v[8:9], 0, 0
	s_cbranch_vccnz .LBB26_54
.LBB26_60:                              ;   in Loop: Header=BB26_55 Depth=1
	v_mov_b32_e32 v5, s31
	v_add_co_u32_e32 v8, vcc, s30, v2
	v_addc_co_u32_e32 v9, vcc, v5, v3, vcc
	v_mul_lo_u32 v5, v0, v7
	v_mul_lo_u32 v10, v1, v6
	v_mad_u64_u32 v[8:9], s[2:3], v0, v6, v[8:9]
	v_add3_u32 v9, v10, v9, v5
	v_or_b32_e32 v5, s23, v9
	v_cmp_ne_u64_e32 vcc, 0, v[4:5]
                                        ; implicit-def: $vgpr10_vgpr11
	s_and_saveexec_b64 s[2:3], vcc
	s_xor_b64 s[26:27], exec, s[2:3]
	s_cbranch_execz .LBB26_62
; %bb.61:                               ;   in Loop: Header=BB26_55 Depth=1
	s_add_u32 s2, s22, s24
	s_mov_b32 s25, s24
	s_addc_u32 s3, s23, s24
	s_xor_b64 s[28:29], s[2:3], s[24:25]
	v_cvt_f32_u32_e32 v5, s28
	v_cvt_f32_u32_e32 v10, s29
	s_sub_u32 s2, 0, s28
	s_subb_u32 s3, 0, s29
	v_mac_f32_e32 v5, 0x4f800000, v10
	v_rcp_f32_e32 v5, v5
	v_mul_f32_e32 v5, 0x5f7ffffc, v5
	v_mul_f32_e32 v10, 0x2f800000, v5
	v_trunc_f32_e32 v10, v10
	v_mac_f32_e32 v5, 0xcf800000, v10
	v_cvt_u32_f32_e32 v10, v10
	v_cvt_u32_f32_e32 v5, v5
	v_mul_lo_u32 v11, s2, v10
	v_mul_hi_u32 v14, s2, v5
	v_mul_lo_u32 v13, s3, v5
	v_add_u32_e32 v11, v14, v11
	v_mul_lo_u32 v15, s2, v5
	v_add_u32_e32 v11, v11, v13
	v_mul_lo_u32 v14, v5, v11
	v_mul_hi_u32 v16, v5, v15
	v_mul_hi_u32 v13, v5, v11
	v_add_co_u32_e32 v14, vcc, v16, v14
	v_addc_co_u32_e32 v13, vcc, 0, v13, vcc
	v_mul_hi_u32 v17, v10, v15
	v_mul_lo_u32 v15, v10, v15
	v_add_co_u32_e32 v14, vcc, v14, v15
	v_mul_hi_u32 v16, v10, v11
	v_addc_co_u32_e32 v13, vcc, v13, v17, vcc
	v_addc_co_u32_e32 v14, vcc, 0, v16, vcc
	v_mul_lo_u32 v11, v10, v11
	v_add_co_u32_e32 v11, vcc, v13, v11
	v_addc_co_u32_e32 v13, vcc, 0, v14, vcc
	v_add_co_u32_e32 v5, vcc, v5, v11
	v_addc_co_u32_e32 v10, vcc, v10, v13, vcc
	v_mul_lo_u32 v11, s2, v10
	v_mul_hi_u32 v13, s2, v5
	v_add_u32_e32 v11, v13, v11
	v_mul_lo_u32 v13, s3, v5
	v_add_u32_e32 v11, v11, v13
	v_mul_lo_u32 v14, s2, v5
	v_mul_hi_u32 v15, v10, v14
	v_mul_lo_u32 v16, v10, v14
	v_mul_lo_u32 v18, v5, v11
	v_mul_hi_u32 v14, v5, v14
	v_mul_hi_u32 v17, v5, v11
	v_add_co_u32_e32 v14, vcc, v14, v18
	v_addc_co_u32_e32 v17, vcc, 0, v17, vcc
	v_add_co_u32_e32 v14, vcc, v14, v16
	v_mul_hi_u32 v13, v10, v11
	v_addc_co_u32_e32 v14, vcc, v17, v15, vcc
	v_addc_co_u32_e32 v13, vcc, 0, v13, vcc
	v_mul_lo_u32 v11, v10, v11
	v_add_co_u32_e32 v11, vcc, v14, v11
	v_addc_co_u32_e32 v13, vcc, 0, v13, vcc
	v_add_co_u32_e32 v5, vcc, v5, v11
	v_addc_co_u32_e32 v10, vcc, v10, v13, vcc
	v_ashrrev_i32_e32 v13, 31, v9
	v_add_co_u32_e32 v8, vcc, v8, v13
	v_addc_co_u32_e32 v9, vcc, v9, v13, vcc
	v_xor_b32_e32 v15, v8, v13
	v_xor_b32_e32 v14, v9, v13
	v_mad_u64_u32 v[8:9], s[2:3], v15, v10, 0
	v_mul_hi_u32 v11, v15, v5
	v_add_co_u32_e32 v16, vcc, v11, v8
	v_addc_co_u32_e32 v17, vcc, 0, v9, vcc
	v_mad_u64_u32 v[8:9], s[2:3], v14, v10, 0
	v_mad_u64_u32 v[10:11], s[2:3], v14, v5, 0
	v_add_co_u32_e32 v5, vcc, v16, v10
	v_addc_co_u32_e32 v5, vcc, v17, v11, vcc
	v_addc_co_u32_e32 v9, vcc, 0, v9, vcc
	v_add_co_u32_e32 v5, vcc, v5, v8
	v_addc_co_u32_e32 v8, vcc, 0, v9, vcc
	v_mul_lo_u32 v10, s29, v5
	v_mul_lo_u32 v11, s28, v8
	v_mad_u64_u32 v[8:9], s[2:3], s28, v5, 0
	v_add3_u32 v5, v9, v11, v10
	v_sub_u32_e32 v9, v14, v5
	v_mov_b32_e32 v10, s29
	v_sub_co_u32_e32 v8, vcc, v15, v8
	v_subb_co_u32_e64 v9, s[2:3], v9, v10, vcc
	v_subrev_co_u32_e64 v11, s[2:3], s28, v8
	v_subbrev_co_u32_e64 v15, s[4:5], 0, v9, s[2:3]
	v_cmp_le_u32_e64 s[4:5], s29, v15
	v_cndmask_b32_e64 v16, 0, -1, s[4:5]
	v_cmp_le_u32_e64 s[4:5], s28, v11
	v_subb_co_u32_e64 v9, s[2:3], v9, v10, s[2:3]
	v_cndmask_b32_e64 v17, 0, -1, s[4:5]
	v_cmp_eq_u32_e64 s[4:5], s29, v15
	v_subrev_co_u32_e64 v10, s[2:3], s28, v11
	v_subb_co_u32_e32 v5, vcc, v14, v5, vcc
	v_cndmask_b32_e64 v16, v16, v17, s[4:5]
	v_subbrev_co_u32_e64 v9, s[2:3], 0, v9, s[2:3]
	v_cmp_le_u32_e32 vcc, s29, v5
	v_cmp_ne_u32_e64 s[2:3], 0, v16
	v_cndmask_b32_e64 v14, 0, -1, vcc
	v_cmp_le_u32_e32 vcc, s28, v8
	v_cndmask_b32_e64 v9, v15, v9, s[2:3]
	v_cndmask_b32_e64 v15, 0, -1, vcc
	v_cmp_eq_u32_e32 vcc, s29, v5
	v_cndmask_b32_e32 v14, v14, v15, vcc
	v_cmp_ne_u32_e32 vcc, 0, v14
	v_cndmask_b32_e32 v5, v5, v9, vcc
	v_cndmask_b32_e64 v9, v11, v10, s[2:3]
	v_cndmask_b32_e32 v8, v8, v9, vcc
	v_xor_b32_e32 v8, v8, v13
	v_xor_b32_e32 v5, v5, v13
	v_sub_co_u32_e32 v10, vcc, v8, v13
	v_subb_co_u32_e32 v11, vcc, v5, v13, vcc
                                        ; implicit-def: $vgpr8_vgpr9
.LBB26_62:                              ;   in Loop: Header=BB26_55 Depth=1
	s_andn2_saveexec_b64 s[2:3], s[26:27]
	s_cbranch_execz .LBB26_53
; %bb.63:                               ;   in Loop: Header=BB26_55 Depth=1
	v_cvt_f32_u32_e32 v5, s22
	s_sub_i32 s4, 0, s22
	v_mov_b32_e32 v11, v4
	v_rcp_iflag_f32_e32 v5, v5
	v_mul_f32_e32 v5, 0x4f7ffffe, v5
	v_cvt_u32_f32_e32 v5, v5
	v_mul_lo_u32 v9, s4, v5
	v_mul_hi_u32 v9, v5, v9
	v_add_u32_e32 v5, v5, v9
	v_mul_hi_u32 v5, v8, v5
	v_mul_lo_u32 v5, v5, s22
	v_sub_u32_e32 v5, v8, v5
	v_subrev_u32_e32 v8, s22, v5
	v_cmp_le_u32_e32 vcc, s22, v5
	v_cndmask_b32_e32 v5, v5, v8, vcc
	v_subrev_u32_e32 v8, s22, v5
	v_cmp_le_u32_e32 vcc, s22, v5
	v_cndmask_b32_e32 v10, v5, v8, vcc
	s_branch .LBB26_53
.LBB26_64:
	s_endpgm
	.section	.rodata,"a",@progbits
	.p2align	6, 0x0
	.amdhsa_kernel _ZN2at6native12_GLOBAL__N_121reflection_pad1d_flatIaEEvPKT_PS3_lllll
		.amdhsa_group_segment_fixed_size 0
		.amdhsa_private_segment_fixed_size 0
		.amdhsa_kernarg_size 312
		.amdhsa_user_sgpr_count 6
		.amdhsa_user_sgpr_private_segment_buffer 1
		.amdhsa_user_sgpr_dispatch_ptr 0
		.amdhsa_user_sgpr_queue_ptr 0
		.amdhsa_user_sgpr_kernarg_segment_ptr 1
		.amdhsa_user_sgpr_dispatch_id 0
		.amdhsa_user_sgpr_flat_scratch_init 0
		.amdhsa_user_sgpr_kernarg_preload_length 0
		.amdhsa_user_sgpr_kernarg_preload_offset 0
		.amdhsa_user_sgpr_private_segment_size 0
		.amdhsa_uses_dynamic_stack 0
		.amdhsa_system_sgpr_private_segment_wavefront_offset 0
		.amdhsa_system_sgpr_workgroup_id_x 1
		.amdhsa_system_sgpr_workgroup_id_y 0
		.amdhsa_system_sgpr_workgroup_id_z 0
		.amdhsa_system_sgpr_workgroup_info 0
		.amdhsa_system_vgpr_workitem_id 0
		.amdhsa_next_free_vgpr 43
		.amdhsa_next_free_sgpr 77
		.amdhsa_accum_offset 44
		.amdhsa_reserve_vcc 1
		.amdhsa_reserve_flat_scratch 0
		.amdhsa_float_round_mode_32 0
		.amdhsa_float_round_mode_16_64 0
		.amdhsa_float_denorm_mode_32 3
		.amdhsa_float_denorm_mode_16_64 3
		.amdhsa_dx10_clamp 1
		.amdhsa_ieee_mode 1
		.amdhsa_fp16_overflow 0
		.amdhsa_tg_split 0
		.amdhsa_exception_fp_ieee_invalid_op 0
		.amdhsa_exception_fp_denorm_src 0
		.amdhsa_exception_fp_ieee_div_zero 0
		.amdhsa_exception_fp_ieee_overflow 0
		.amdhsa_exception_fp_ieee_underflow 0
		.amdhsa_exception_fp_ieee_inexact 0
		.amdhsa_exception_int_div_zero 0
	.end_amdhsa_kernel
	.section	.text._ZN2at6native12_GLOBAL__N_121reflection_pad1d_flatIaEEvPKT_PS3_lllll,"axG",@progbits,_ZN2at6native12_GLOBAL__N_121reflection_pad1d_flatIaEEvPKT_PS3_lllll,comdat
.Lfunc_end26:
	.size	_ZN2at6native12_GLOBAL__N_121reflection_pad1d_flatIaEEvPKT_PS3_lllll, .Lfunc_end26-_ZN2at6native12_GLOBAL__N_121reflection_pad1d_flatIaEEvPKT_PS3_lllll
                                        ; -- End function
	.section	.AMDGPU.csdata,"",@progbits
; Kernel info:
; codeLenInByte = 10604
; NumSgprs: 81
; NumVgprs: 43
; NumAgprs: 0
; TotalNumVgprs: 43
; ScratchSize: 0
; MemoryBound: 0
; FloatMode: 240
; IeeeMode: 1
; LDSByteSize: 0 bytes/workgroup (compile time only)
; SGPRBlocks: 10
; VGPRBlocks: 5
; NumSGPRsForWavesPerEU: 81
; NumVGPRsForWavesPerEU: 43
; AccumOffset: 44
; Occupancy: 8
; WaveLimiterHint : 0
; COMPUTE_PGM_RSRC2:SCRATCH_EN: 0
; COMPUTE_PGM_RSRC2:USER_SGPR: 6
; COMPUTE_PGM_RSRC2:TRAP_HANDLER: 0
; COMPUTE_PGM_RSRC2:TGID_X_EN: 1
; COMPUTE_PGM_RSRC2:TGID_Y_EN: 0
; COMPUTE_PGM_RSRC2:TGID_Z_EN: 0
; COMPUTE_PGM_RSRC2:TIDIG_COMP_CNT: 0
; COMPUTE_PGM_RSRC3_GFX90A:ACCUM_OFFSET: 10
; COMPUTE_PGM_RSRC3_GFX90A:TG_SPLIT: 0
	.section	.text._ZN2at6native12_GLOBAL__N_127reflection_pad1d_out_kernelIiEEvPKT_PS3_lll,"axG",@progbits,_ZN2at6native12_GLOBAL__N_127reflection_pad1d_out_kernelIiEEvPKT_PS3_lll,comdat
	.globl	_ZN2at6native12_GLOBAL__N_127reflection_pad1d_out_kernelIiEEvPKT_PS3_lll ; -- Begin function _ZN2at6native12_GLOBAL__N_127reflection_pad1d_out_kernelIiEEvPKT_PS3_lll
	.p2align	8
	.type	_ZN2at6native12_GLOBAL__N_127reflection_pad1d_out_kernelIiEEvPKT_PS3_lll,@function
_ZN2at6native12_GLOBAL__N_127reflection_pad1d_out_kernelIiEEvPKT_PS3_lll: ; @_ZN2at6native12_GLOBAL__N_127reflection_pad1d_out_kernelIiEEvPKT_PS3_lll
; %bb.0:
	s_load_dword s9, s[4:5], 0x34
	s_load_dwordx2 s[0:1], s[4:5], 0x20
	s_load_dwordx8 s[12:19], s[4:5], 0x0
	s_add_u32 s2, s4, 40
	s_addc_u32 s3, s5, 0
	s_waitcnt lgkmcnt(0)
	s_and_b32 s4, s9, 0xffff
	v_mov_b32_e32 v1, 0
	v_mov_b32_e32 v2, s6
	v_mad_u64_u32 v[0:1], s[4:5], s4, v2, v[0:1]
	s_add_u32 s4, s18, s16
	s_addc_u32 s5, s19, s17
	s_add_u32 s0, s4, s0
	s_addc_u32 s1, s5, s1
	v_cmp_gt_i64_e32 vcc, s[0:1], v[0:1]
	s_and_saveexec_b64 s[10:11], vcc
	s_cbranch_execz .LBB27_2
; %bb.1:
	s_load_dword s6, s[2:3], 0x4
	s_sub_u32 s2, 0, s18
	v_mov_b32_e32 v2, s19
	v_subrev_co_u32_e32 v3, vcc, s18, v0
	s_waitcnt lgkmcnt(0)
	s_mul_i32 s6, s6, s8
	s_subb_u32 s3, 0, s19
	s_add_i32 s10, s6, s7
	v_subb_co_u32_e32 v2, vcc, v1, v2, vcc
	s_mul_i32 s7, s10, s17
	s_mul_hi_u32 s8, s10, s16
	v_ashrrev_i32_e32 v4, 31, v2
	s_add_i32 s7, s8, s7
	s_mul_i32 s1, s1, s10
	s_mul_hi_u32 s8, s0, s10
	v_xor_b32_e32 v5, v2, v4
	v_xor_b32_e32 v2, v3, v4
	s_add_i32 s1, s8, s1
	v_cmp_gt_i64_e64 s[8:9], s[2:3], 0
	v_sub_co_u32_e32 v2, vcc, v2, v4
	s_and_b64 s[8:9], s[8:9], exec
	v_subb_co_u32_e32 v3, vcc, v5, v4, vcc
	s_cselect_b32 s8, s3, 0
	s_cselect_b32 s9, s2, 0
	v_cmp_gt_i64_e64 s[2:3], s[18:19], 0
	v_mov_b32_e32 v4, s5
	v_subrev_co_u32_e32 v5, vcc, s4, v0
	s_and_b64 s[2:3], s[2:3], exec
	v_subb_co_u32_e32 v4, vcc, v1, v4, vcc
	s_cselect_b32 s3, s19, 0
	s_cselect_b32 s2, s18, 0
	v_add_co_u32_e32 v5, vcc, 1, v5
	v_addc_co_u32_e32 v4, vcc, 0, v4, vcc
	s_not_b64 s[2:3], s[2:3]
	v_ashrrev_i32_e32 v6, 31, v4
	s_add_u32 s4, s4, s18
	v_xor_b32_e32 v5, v5, v6
	s_addc_u32 s5, s5, s19
	v_xor_b32_e32 v4, v4, v6
	v_sub_co_u32_e32 v5, vcc, v5, v6
	s_add_u32 s2, s4, s2
	v_subb_co_u32_e32 v4, vcc, v4, v6, vcc
	s_addc_u32 s3, s5, s3
	s_add_u32 s2, s2, s9
	v_add_co_u32_e32 v5, vcc, v0, v5
	s_addc_u32 s3, s3, s8
	v_addc_co_u32_e32 v6, vcc, v1, v4, vcc
	v_mov_b32_e32 v7, s3
	v_sub_co_u32_e32 v4, vcc, s2, v5
	v_subb_co_u32_e32 v5, vcc, v7, v6, vcc
	v_lshlrev_b64 v[4:5], 2, v[4:5]
	v_mov_b32_e32 v6, s13
	v_add_co_u32_e32 v4, vcc, s12, v4
	v_addc_co_u32_e32 v5, vcc, v6, v5, vcc
	v_lshlrev_b64 v[2:3], 2, v[2:3]
	s_mul_i32 s6, s10, s16
	v_add_co_u32_e32 v2, vcc, v4, v2
	v_addc_co_u32_e32 v3, vcc, v5, v3, vcc
	s_lshl_b64 s[2:3], s[6:7], 2
	v_mov_b32_e32 v4, s3
	v_add_co_u32_e32 v2, vcc, s2, v2
	v_addc_co_u32_e32 v3, vcc, v3, v4, vcc
	global_load_dword v2, v[2:3], off
	s_mul_i32 s0, s0, s10
	s_lshl_b64 s[0:1], s[0:1], 2
	s_add_u32 s0, s14, s0
	s_addc_u32 s1, s15, s1
	v_lshlrev_b64 v[0:1], 2, v[0:1]
	v_mov_b32_e32 v3, s1
	v_add_co_u32_e32 v0, vcc, s0, v0
	v_addc_co_u32_e32 v1, vcc, v3, v1, vcc
	s_waitcnt vmcnt(0)
	global_store_dword v[0:1], v2, off
.LBB27_2:
	s_endpgm
	.section	.rodata,"a",@progbits
	.p2align	6, 0x0
	.amdhsa_kernel _ZN2at6native12_GLOBAL__N_127reflection_pad1d_out_kernelIiEEvPKT_PS3_lll
		.amdhsa_group_segment_fixed_size 0
		.amdhsa_private_segment_fixed_size 0
		.amdhsa_kernarg_size 296
		.amdhsa_user_sgpr_count 6
		.amdhsa_user_sgpr_private_segment_buffer 1
		.amdhsa_user_sgpr_dispatch_ptr 0
		.amdhsa_user_sgpr_queue_ptr 0
		.amdhsa_user_sgpr_kernarg_segment_ptr 1
		.amdhsa_user_sgpr_dispatch_id 0
		.amdhsa_user_sgpr_flat_scratch_init 0
		.amdhsa_user_sgpr_kernarg_preload_length 0
		.amdhsa_user_sgpr_kernarg_preload_offset 0
		.amdhsa_user_sgpr_private_segment_size 0
		.amdhsa_uses_dynamic_stack 0
		.amdhsa_system_sgpr_private_segment_wavefront_offset 0
		.amdhsa_system_sgpr_workgroup_id_x 1
		.amdhsa_system_sgpr_workgroup_id_y 1
		.amdhsa_system_sgpr_workgroup_id_z 1
		.amdhsa_system_sgpr_workgroup_info 0
		.amdhsa_system_vgpr_workitem_id 0
		.amdhsa_next_free_vgpr 8
		.amdhsa_next_free_sgpr 20
		.amdhsa_accum_offset 8
		.amdhsa_reserve_vcc 1
		.amdhsa_reserve_flat_scratch 0
		.amdhsa_float_round_mode_32 0
		.amdhsa_float_round_mode_16_64 0
		.amdhsa_float_denorm_mode_32 3
		.amdhsa_float_denorm_mode_16_64 3
		.amdhsa_dx10_clamp 1
		.amdhsa_ieee_mode 1
		.amdhsa_fp16_overflow 0
		.amdhsa_tg_split 0
		.amdhsa_exception_fp_ieee_invalid_op 0
		.amdhsa_exception_fp_denorm_src 0
		.amdhsa_exception_fp_ieee_div_zero 0
		.amdhsa_exception_fp_ieee_overflow 0
		.amdhsa_exception_fp_ieee_underflow 0
		.amdhsa_exception_fp_ieee_inexact 0
		.amdhsa_exception_int_div_zero 0
	.end_amdhsa_kernel
	.section	.text._ZN2at6native12_GLOBAL__N_127reflection_pad1d_out_kernelIiEEvPKT_PS3_lll,"axG",@progbits,_ZN2at6native12_GLOBAL__N_127reflection_pad1d_out_kernelIiEEvPKT_PS3_lll,comdat
.Lfunc_end27:
	.size	_ZN2at6native12_GLOBAL__N_127reflection_pad1d_out_kernelIiEEvPKT_PS3_lll, .Lfunc_end27-_ZN2at6native12_GLOBAL__N_127reflection_pad1d_out_kernelIiEEvPKT_PS3_lll
                                        ; -- End function
	.section	.AMDGPU.csdata,"",@progbits
; Kernel info:
; codeLenInByte = 416
; NumSgprs: 24
; NumVgprs: 8
; NumAgprs: 0
; TotalNumVgprs: 8
; ScratchSize: 0
; MemoryBound: 0
; FloatMode: 240
; IeeeMode: 1
; LDSByteSize: 0 bytes/workgroup (compile time only)
; SGPRBlocks: 2
; VGPRBlocks: 0
; NumSGPRsForWavesPerEU: 24
; NumVGPRsForWavesPerEU: 8
; AccumOffset: 8
; Occupancy: 8
; WaveLimiterHint : 0
; COMPUTE_PGM_RSRC2:SCRATCH_EN: 0
; COMPUTE_PGM_RSRC2:USER_SGPR: 6
; COMPUTE_PGM_RSRC2:TRAP_HANDLER: 0
; COMPUTE_PGM_RSRC2:TGID_X_EN: 1
; COMPUTE_PGM_RSRC2:TGID_Y_EN: 1
; COMPUTE_PGM_RSRC2:TGID_Z_EN: 1
; COMPUTE_PGM_RSRC2:TIDIG_COMP_CNT: 0
; COMPUTE_PGM_RSRC3_GFX90A:ACCUM_OFFSET: 1
; COMPUTE_PGM_RSRC3_GFX90A:TG_SPLIT: 0
	.section	.text._ZN2at6native12_GLOBAL__N_121reflection_pad1d_flatIiEEvPKT_PS3_lllll,"axG",@progbits,_ZN2at6native12_GLOBAL__N_121reflection_pad1d_flatIiEEvPKT_PS3_lllll,comdat
	.globl	_ZN2at6native12_GLOBAL__N_121reflection_pad1d_flatIiEEvPKT_PS3_lllll ; -- Begin function _ZN2at6native12_GLOBAL__N_121reflection_pad1d_flatIiEEvPKT_PS3_lllll
	.p2align	8
	.type	_ZN2at6native12_GLOBAL__N_121reflection_pad1d_flatIiEEvPKT_PS3_lllll,@function
_ZN2at6native12_GLOBAL__N_121reflection_pad1d_flatIiEEvPKT_PS3_lllll: ; @_ZN2at6native12_GLOBAL__N_121reflection_pad1d_flatIiEEvPKT_PS3_lllll
; %bb.0:
	s_load_dword s2, s[4:5], 0x44
	s_load_dwordx4 s[8:11], s[4:5], 0x28
	s_add_u32 s0, s4, 56
	s_addc_u32 s1, s5, 0
	v_mov_b32_e32 v1, 0
	s_waitcnt lgkmcnt(0)
	s_and_b32 s7, s2, 0xffff
	s_mul_i32 s2, s10, s9
	s_mul_hi_u32 s3, s10, s8
	s_add_i32 s2, s3, s2
	s_mul_i32 s3, s11, s8
	v_mov_b32_e32 v2, s6
	s_add_i32 s11, s2, s3
	s_mul_i32 s10, s10, s8
	v_mad_u64_u32 v[2:3], s[2:3], s7, v2, v[0:1]
	v_cmp_gt_i64_e32 vcc, s[10:11], v[2:3]
	s_and_saveexec_b64 s[2:3], vcc
	s_cbranch_execz .LBB28_44
; %bb.1:
	s_load_dword s0, s[0:1], 0x0
	v_mov_b32_e32 v4, s7
	s_waitcnt lgkmcnt(0)
	s_add_u32 s52, s6, s0
	s_addc_u32 s36, 0, 0
	s_mul_hi_u32 s21, s7, s0
	s_mul_i32 s20, s7, s0
	s_mul_i32 s36, s36, s7
	v_mad_u64_u32 v[6:7], s[0:1], s52, v4, v[0:1]
	v_add_u32_e32 v7, s36, v7
	v_mov_b32_e32 v4, s11
	v_cmp_gt_i64_e32 vcc, s[10:11], v[6:7]
	v_cndmask_b32_e32 v8, v7, v4, vcc
	v_mov_b32_e32 v4, s10
	v_cndmask_b32_e32 v5, v6, v4, vcc
	v_cndmask_b32_e64 v4, 0, 1, vcc
	v_add_co_u32_e32 v6, vcc, v6, v4
	v_addc_co_u32_e32 v7, vcc, 0, v7, vcc
	v_sub_co_u32_e32 v5, vcc, v5, v6
	v_subb_co_u32_e32 v8, vcc, v8, v7, vcc
	v_or_b32_e32 v7, s21, v8
	v_mov_b32_e32 v6, v1
	v_cmp_ne_u64_e32 vcc, 0, v[6:7]
                                        ; implicit-def: $vgpr6_vgpr7
	s_and_saveexec_b64 s[0:1], vcc
	s_xor_b64 s[2:3], exec, s[0:1]
	s_cbranch_execz .LBB28_3
; %bb.2:
	v_cvt_f32_u32_e32 v1, s20
	v_cvt_f32_u32_e32 v6, s21
	s_sub_u32 s0, 0, s20
	s_subb_u32 s1, 0, s21
	v_madmk_f32 v1, v6, 0x4f800000, v1
	v_rcp_f32_e32 v1, v1
	v_mul_f32_e32 v1, 0x5f7ffffc, v1
	v_mul_f32_e32 v6, 0x2f800000, v1
	v_trunc_f32_e32 v6, v6
	v_madmk_f32 v1, v6, 0xcf800000, v1
	v_cvt_u32_f32_e32 v6, v6
	v_cvt_u32_f32_e32 v1, v1
	v_mul_lo_u32 v7, s0, v6
	v_mul_hi_u32 v10, s0, v1
	v_mul_lo_u32 v9, s1, v1
	v_add_u32_e32 v7, v10, v7
	v_mul_lo_u32 v11, s0, v1
	v_add_u32_e32 v7, v7, v9
	v_mul_hi_u32 v10, v1, v11
	v_mul_lo_u32 v12, v1, v7
	v_mul_hi_u32 v9, v1, v7
	v_add_co_u32_e32 v10, vcc, v10, v12
	v_addc_co_u32_e32 v9, vcc, 0, v9, vcc
	v_mul_hi_u32 v13, v6, v11
	v_mul_lo_u32 v11, v6, v11
	v_add_co_u32_e32 v10, vcc, v10, v11
	v_mul_hi_u32 v12, v6, v7
	v_addc_co_u32_e32 v9, vcc, v9, v13, vcc
	v_addc_co_u32_e32 v10, vcc, 0, v12, vcc
	v_mul_lo_u32 v7, v6, v7
	v_add_co_u32_e32 v7, vcc, v9, v7
	v_addc_co_u32_e32 v9, vcc, 0, v10, vcc
	v_add_co_u32_e32 v1, vcc, v1, v7
	v_addc_co_u32_e32 v6, vcc, v6, v9, vcc
	v_mul_lo_u32 v7, s0, v6
	v_mul_hi_u32 v9, s0, v1
	v_add_u32_e32 v7, v9, v7
	v_mul_lo_u32 v9, s1, v1
	v_add_u32_e32 v7, v7, v9
	v_mul_lo_u32 v10, s0, v1
	v_mul_hi_u32 v11, v6, v10
	v_mul_lo_u32 v12, v6, v10
	v_mul_lo_u32 v14, v1, v7
	v_mul_hi_u32 v10, v1, v10
	v_mul_hi_u32 v13, v1, v7
	v_add_co_u32_e32 v10, vcc, v10, v14
	v_addc_co_u32_e32 v13, vcc, 0, v13, vcc
	v_add_co_u32_e32 v10, vcc, v10, v12
	v_mul_hi_u32 v9, v6, v7
	v_addc_co_u32_e32 v10, vcc, v13, v11, vcc
	v_addc_co_u32_e32 v9, vcc, 0, v9, vcc
	v_mul_lo_u32 v7, v6, v7
	v_add_co_u32_e32 v7, vcc, v10, v7
	v_addc_co_u32_e32 v9, vcc, 0, v9, vcc
	v_add_co_u32_e32 v1, vcc, v1, v7
	v_addc_co_u32_e32 v9, vcc, v6, v9, vcc
	v_mad_u64_u32 v[6:7], s[0:1], v5, v9, 0
	v_mul_hi_u32 v10, v5, v1
	v_add_co_u32_e32 v12, vcc, v10, v6
	v_addc_co_u32_e32 v13, vcc, 0, v7, vcc
	v_mad_u64_u32 v[10:11], s[0:1], v8, v1, 0
	v_add_co_u32_e32 v1, vcc, v12, v10
	v_mad_u64_u32 v[6:7], s[0:1], v8, v9, 0
	v_addc_co_u32_e32 v1, vcc, v13, v11, vcc
	v_addc_co_u32_e32 v7, vcc, 0, v7, vcc
	v_add_co_u32_e32 v1, vcc, v1, v6
	v_addc_co_u32_e32 v9, vcc, 0, v7, vcc
	v_mul_lo_u32 v10, s21, v1
	v_mul_lo_u32 v11, s20, v9
	v_mad_u64_u32 v[6:7], s[0:1], s20, v1, 0
	v_add3_u32 v7, v7, v11, v10
	v_sub_u32_e32 v10, v8, v7
	v_mov_b32_e32 v11, s21
	v_sub_co_u32_e32 v5, vcc, v5, v6
	v_subb_co_u32_e64 v6, s[0:1], v10, v11, vcc
	v_subrev_co_u32_e64 v10, s[0:1], s20, v5
	v_subbrev_co_u32_e64 v6, s[0:1], 0, v6, s[0:1]
	v_cmp_le_u32_e64 s[0:1], s21, v6
	v_cndmask_b32_e64 v11, 0, -1, s[0:1]
	v_cmp_le_u32_e64 s[0:1], s20, v10
	v_cndmask_b32_e64 v10, 0, -1, s[0:1]
	v_cmp_eq_u32_e64 s[0:1], s21, v6
	v_cndmask_b32_e64 v6, v11, v10, s[0:1]
	v_add_co_u32_e64 v10, s[0:1], 2, v1
	v_subb_co_u32_e32 v7, vcc, v8, v7, vcc
	v_addc_co_u32_e64 v11, s[0:1], 0, v9, s[0:1]
	v_cmp_le_u32_e32 vcc, s21, v7
	v_add_co_u32_e64 v12, s[0:1], 1, v1
	v_cndmask_b32_e64 v8, 0, -1, vcc
	v_cmp_le_u32_e32 vcc, s20, v5
	v_addc_co_u32_e64 v13, s[0:1], 0, v9, s[0:1]
	v_cndmask_b32_e64 v5, 0, -1, vcc
	v_cmp_eq_u32_e32 vcc, s21, v7
	v_cmp_ne_u32_e64 s[0:1], 0, v6
	v_cndmask_b32_e32 v5, v8, v5, vcc
	v_cndmask_b32_e64 v6, v13, v11, s[0:1]
	v_cmp_ne_u32_e32 vcc, 0, v5
	v_cndmask_b32_e64 v5, v12, v10, s[0:1]
	v_cndmask_b32_e32 v7, v9, v6, vcc
	v_cndmask_b32_e32 v6, v1, v5, vcc
                                        ; implicit-def: $vgpr5
.LBB28_3:
	s_or_saveexec_b64 s[0:1], s[2:3]
	s_load_dwordx4 s[12:15], s[4:5], 0x0
	s_xor_b64 exec, exec, s[0:1]
	s_cbranch_execz .LBB28_5
; %bb.4:
	v_cvt_f32_u32_e32 v1, s20
	s_sub_i32 s2, 0, s20
	v_rcp_iflag_f32_e32 v1, v1
	v_mul_f32_e32 v1, 0x4f7ffffe, v1
	v_cvt_u32_f32_e32 v1, v1
	v_mul_lo_u32 v6, s2, v1
	v_mul_hi_u32 v6, v1, v6
	v_add_u32_e32 v1, v1, v6
	v_mul_hi_u32 v1, v5, v1
	v_mul_lo_u32 v6, v1, s20
	v_sub_u32_e32 v5, v5, v6
	v_add_u32_e32 v7, 1, v1
	v_subrev_u32_e32 v6, s20, v5
	v_cmp_le_u32_e32 vcc, s20, v5
	v_cndmask_b32_e32 v5, v5, v6, vcc
	v_cndmask_b32_e32 v1, v1, v7, vcc
	v_add_u32_e32 v6, 1, v1
	v_cmp_le_u32_e32 vcc, s20, v5
	v_cndmask_b32_e32 v6, v1, v6, vcc
	v_mov_b32_e32 v7, 0
.LBB28_5:
	s_or_b64 exec, exec, s[0:1]
	s_load_dwordx4 s[16:19], s[4:5], 0x10
	v_add_co_u32_e32 v1, vcc, v6, v4
	v_addc_co_u32_e32 v4, vcc, 0, v7, vcc
	s_waitcnt lgkmcnt(0)
	s_lshl_b64 s[2:3], s[16:17], 1
	s_add_u32 s22, s2, -2
	v_add_co_u32_e32 v12, vcc, 1, v1
	s_addc_u32 s23, s3, -1
	v_addc_co_u32_e32 v13, vcc, 0, v4, vcc
	s_mov_b64 s[0:1], 0
	v_cmp_lt_i64_e64 s[28:29], s[22:23], 1
	v_cmp_gt_i64_e64 s[24:25], s[22:23], 0
	v_cmp_lt_u64_e32 vcc, 1, v[12:13]
                                        ; kill: def $vgpr4_vgpr5 killed $sgpr0_sgpr1 killed $exec
                                        ; implicit-def: $sgpr30_sgpr31
                                        ; implicit-def: $sgpr34_sgpr35
	s_and_saveexec_b64 s[2:3], vcc
	s_xor_b64 s[26:27], exec, s[2:3]
	s_cbranch_execz .LBB28_29
; %bb.6:
	v_mov_b32_e32 v1, s21
	v_add_co_u32_e32 v4, vcc, s20, v2
	v_addc_co_u32_e32 v5, vcc, v3, v1, vcc
	v_mov_b32_e32 v1, s19
	v_subrev_co_u32_e32 v0, vcc, s18, v0
	s_mul_hi_u32 s51, s52, s7
	v_subb_co_u32_e32 v1, vcc, 0, v1, vcc
	v_lshlrev_b64 v[6:7], 2, v[2:3]
	s_mul_hi_u32 s33, s7, s6
	s_mul_i32 s50, s7, s6
	s_add_i32 s51, s51, s36
	s_mul_i32 s52, s52, s7
	s_lshl_b64 s[6:7], s[20:21], 1
	s_xor_b64 s[42:43], s[28:29], -1
	v_mov_b32_e32 v8, s15
	v_add_co_u32_e32 v16, vcc, s14, v6
	v_and_b32_e32 v14, -2, v12
	v_mov_b32_e32 v15, v13
	s_sub_u32 s30, 0, s8
	v_addc_co_u32_e32 v17, vcc, v8, v7, vcc
	v_pk_mov_b32 v[6:7], v[4:5], v[4:5] op_sel:[0,1]
	s_mov_b32 s53, s6
	s_mov_b32 s54, s7
	s_mov_b32 s55, s22
	s_mov_b32 s56, s23
	s_mov_b32 s36, s16
	s_mov_b32 s37, s17
	s_mov_b32 s38, s16
	s_mov_b32 s39, s17
	s_mov_b64 s[40:41], 0
	s_subb_u32 s31, 0, s9
	s_lshl_b64 s[34:35], s[20:21], 2
	s_lshl_b64 s[44:45], s[20:21], 3
	v_mov_b32_e32 v18, 0
	v_pk_mov_b32 v[20:21], v[14:15], v[14:15] op_sel:[0,1]
	v_pk_mov_b32 v[4:5], v[2:3], v[2:3] op_sel:[0,1]
	s_branch .LBB28_9
.LBB28_7:                               ;   in Loop: Header=BB28_9 Depth=1
	s_or_b64 exec, exec, s[0:1]
.LBB28_8:                               ;   in Loop: Header=BB28_9 Depth=1
	v_ashrrev_i32_e32 v27, 31, v9
	v_and_b32_e32 v28, s23, v27
	v_and_b32_e32 v27, s22, v27
	v_ashrrev_i32_e32 v19, 31, v11
	v_add_co_u32_e32 v8, vcc, v27, v8
	v_and_b32_e32 v26, s56, v19
	v_and_b32_e32 v19, s55, v19
	v_addc_co_u32_e32 v9, vcc, v28, v9, vcc
	v_add_co_u32_e32 v10, vcc, v19, v10
	v_addc_co_u32_e32 v11, vcc, v26, v11, vcc
	v_mov_b32_e32 v19, s56
	v_sub_co_u32_e32 v26, vcc, s55, v10
	v_subb_co_u32_e32 v19, vcc, v19, v11, vcc
	v_mov_b32_e32 v27, s23
	v_sub_co_u32_e32 v28, vcc, s22, v8
	v_subb_co_u32_e32 v27, vcc, v27, v9, vcc
	v_cmp_gt_i64_e32 vcc, s[36:37], v[8:9]
	v_cndmask_b32_e32 v28, v28, v8, vcc
	v_cndmask_b32_e32 v27, v27, v9, vcc
	v_cmp_gt_i64_e32 vcc, s[38:39], v[10:11]
	v_cndmask_b32_e32 v8, v26, v10, vcc
	v_cndmask_b32_e32 v9, v19, v11, vcc
	v_mul_lo_u32 v19, v25, s38
	v_mul_lo_u32 v26, v24, s39
	v_mad_u64_u32 v[24:25], s[0:1], v24, s38, 0
	v_add3_u32 v25, v25, v26, v19
	v_mul_lo_u32 v19, v23, s36
	v_mul_lo_u32 v26, v22, s37
	v_mad_u64_u32 v[22:23], s[0:1], v22, s36, 0
	v_add3_u32 v23, v23, v26, v19
	v_lshlrev_b64 v[22:23], 2, v[22:23]
	v_mov_b32_e32 v19, s13
	v_add_co_u32_e32 v26, vcc, s12, v22
	v_cndmask_b32_e64 v11, v27, 0, s[28:29]
	v_addc_co_u32_e32 v27, vcc, v19, v23, vcc
	v_lshlrev_b64 v[22:23], 2, v[24:25]
	v_cndmask_b32_e64 v10, v28, 0, s[28:29]
	v_add_co_u32_e32 v22, vcc, s12, v22
	v_addc_co_u32_e32 v19, vcc, v19, v23, vcc
	v_lshlrev_b64 v[10:11], 2, v[10:11]
	v_cndmask_b32_e64 v9, v9, 0, s[28:29]
	v_cndmask_b32_e64 v8, v8, 0, s[28:29]
	v_add_co_u32_e32 v10, vcc, v26, v10
	v_addc_co_u32_e32 v11, vcc, v27, v11, vcc
	v_lshlrev_b64 v[8:9], 2, v[8:9]
	v_add_co_u32_e32 v8, vcc, v22, v8
	v_addc_co_u32_e32 v9, vcc, v19, v9, vcc
	global_load_dword v19, v[10:11], off
	global_load_dword v22, v[8:9], off
	v_add_co_u32_e32 v20, vcc, -2, v20
	v_addc_co_u32_e32 v21, vcc, -1, v21, vcc
	v_mov_b32_e32 v9, s35
	v_add_co_u32_e32 v8, vcc, s34, v16
	v_addc_co_u32_e32 v9, vcc, v17, v9, vcc
	v_mov_b32_e32 v10, s54
	v_add_co_u32_e32 v6, vcc, s53, v6
	v_addc_co_u32_e32 v7, vcc, v7, v10, vcc
	;; [unrolled: 3-line block ×4, first 2 shown]
	v_cmp_eq_u64_e32 vcc, 0, v[20:21]
	s_or_b64 s[40:41], vcc, s[40:41]
	s_waitcnt vmcnt(1)
	global_store_dword v[16:17], v19, off
	s_waitcnt vmcnt(1)
	global_store_dword v[8:9], v22, off
	v_mov_b32_e32 v8, s45
	v_add_co_u32_e32 v16, vcc, s44, v16
	v_addc_co_u32_e32 v17, vcc, v17, v8, vcc
	s_andn2_b64 exec, exec, s[40:41]
	s_cbranch_execz .LBB28_28
.LBB28_9:                               ; =>This Inner Loop Header: Depth=1
	v_or_b32_e32 v19, s9, v5
	v_cmp_ne_u64_e32 vcc, 0, v[18:19]
                                        ; implicit-def: $vgpr22_vgpr23
	s_and_saveexec_b64 s[0:1], vcc
	s_xor_b64 s[2:3], exec, s[0:1]
	s_cbranch_execz .LBB28_11
; %bb.10:                               ;   in Loop: Header=BB28_9 Depth=1
	s_ashr_i32 s4, s9, 31
	s_add_u32 s0, s8, s4
	s_mov_b32 s5, s4
	s_addc_u32 s1, s9, s4
	s_xor_b64 s[46:47], s[0:1], s[4:5]
	v_cvt_f32_u32_e32 v8, s46
	v_cvt_f32_u32_e32 v9, s47
	s_sub_u32 s0, 0, s46
	s_subb_u32 s1, 0, s47
	v_mac_f32_e32 v8, 0x4f800000, v9
	v_rcp_f32_e32 v8, v8
	v_mul_f32_e32 v8, 0x5f7ffffc, v8
	v_mul_f32_e32 v9, 0x2f800000, v8
	v_trunc_f32_e32 v9, v9
	v_mac_f32_e32 v8, 0xcf800000, v9
	v_cvt_u32_f32_e32 v9, v9
	v_cvt_u32_f32_e32 v8, v8
	v_mul_lo_u32 v10, s0, v9
	v_mul_hi_u32 v19, s0, v8
	v_mul_lo_u32 v11, s1, v8
	v_add_u32_e32 v10, v19, v10
	v_mul_lo_u32 v22, s0, v8
	v_add_u32_e32 v10, v10, v11
	v_mul_lo_u32 v19, v8, v10
	v_mul_hi_u32 v23, v8, v22
	v_mul_hi_u32 v11, v8, v10
	v_add_co_u32_e32 v19, vcc, v23, v19
	v_addc_co_u32_e32 v11, vcc, 0, v11, vcc
	v_mul_hi_u32 v24, v9, v22
	v_mul_lo_u32 v22, v9, v22
	v_add_co_u32_e32 v19, vcc, v19, v22
	v_mul_hi_u32 v23, v9, v10
	v_addc_co_u32_e32 v11, vcc, v11, v24, vcc
	v_addc_co_u32_e32 v19, vcc, 0, v23, vcc
	v_mul_lo_u32 v10, v9, v10
	v_add_co_u32_e32 v10, vcc, v11, v10
	v_addc_co_u32_e32 v11, vcc, 0, v19, vcc
	v_add_co_u32_e32 v8, vcc, v8, v10
	v_addc_co_u32_e32 v9, vcc, v9, v11, vcc
	v_mul_lo_u32 v10, s0, v9
	v_mul_hi_u32 v11, s0, v8
	v_add_u32_e32 v10, v11, v10
	v_mul_lo_u32 v11, s1, v8
	v_add_u32_e32 v10, v10, v11
	v_mul_lo_u32 v19, s0, v8
	v_mul_hi_u32 v22, v9, v19
	v_mul_lo_u32 v23, v9, v19
	v_mul_lo_u32 v25, v8, v10
	v_mul_hi_u32 v19, v8, v19
	v_mul_hi_u32 v24, v8, v10
	v_add_co_u32_e32 v19, vcc, v19, v25
	v_addc_co_u32_e32 v24, vcc, 0, v24, vcc
	v_add_co_u32_e32 v19, vcc, v19, v23
	v_mul_hi_u32 v11, v9, v10
	v_addc_co_u32_e32 v19, vcc, v24, v22, vcc
	v_addc_co_u32_e32 v11, vcc, 0, v11, vcc
	v_mul_lo_u32 v10, v9, v10
	v_add_co_u32_e32 v10, vcc, v19, v10
	v_addc_co_u32_e32 v11, vcc, 0, v11, vcc
	v_add_co_u32_e32 v10, vcc, v8, v10
	v_addc_co_u32_e32 v11, vcc, v9, v11, vcc
	v_ashrrev_i32_e32 v19, 31, v5
	v_add_co_u32_e32 v8, vcc, v4, v19
	v_addc_co_u32_e32 v9, vcc, v5, v19, vcc
	v_xor_b32_e32 v23, v8, v19
	v_xor_b32_e32 v22, v9, v19
	v_mad_u64_u32 v[8:9], s[0:1], v23, v11, 0
	v_mul_hi_u32 v24, v23, v10
	v_add_co_u32_e32 v24, vcc, v24, v8
	v_addc_co_u32_e32 v25, vcc, 0, v9, vcc
	v_mad_u64_u32 v[8:9], s[0:1], v22, v11, 0
	v_mad_u64_u32 v[10:11], s[0:1], v22, v10, 0
	v_add_co_u32_e32 v10, vcc, v24, v10
	v_addc_co_u32_e32 v10, vcc, v25, v11, vcc
	v_addc_co_u32_e32 v9, vcc, 0, v9, vcc
	v_add_co_u32_e32 v10, vcc, v10, v8
	v_addc_co_u32_e32 v11, vcc, 0, v9, vcc
	v_mul_lo_u32 v24, s47, v10
	v_mul_lo_u32 v25, s46, v11
	v_mad_u64_u32 v[8:9], s[0:1], s46, v10, 0
	v_add3_u32 v9, v9, v25, v24
	v_sub_u32_e32 v24, v22, v9
	v_mov_b32_e32 v25, s47
	v_sub_co_u32_e32 v8, vcc, v23, v8
	v_subb_co_u32_e64 v23, s[0:1], v24, v25, vcc
	v_subrev_co_u32_e64 v24, s[0:1], s46, v8
	v_subbrev_co_u32_e64 v23, s[0:1], 0, v23, s[0:1]
	v_cmp_le_u32_e64 s[0:1], s47, v23
	v_cndmask_b32_e64 v25, 0, -1, s[0:1]
	v_cmp_le_u32_e64 s[0:1], s46, v24
	v_cndmask_b32_e64 v24, 0, -1, s[0:1]
	v_cmp_eq_u32_e64 s[0:1], s47, v23
	v_cndmask_b32_e64 v23, v25, v24, s[0:1]
	v_add_co_u32_e64 v24, s[0:1], 2, v10
	v_subb_co_u32_e32 v9, vcc, v22, v9, vcc
	v_addc_co_u32_e64 v25, s[0:1], 0, v11, s[0:1]
	v_cmp_le_u32_e32 vcc, s47, v9
	v_add_co_u32_e64 v26, s[0:1], 1, v10
	v_cndmask_b32_e64 v22, 0, -1, vcc
	v_cmp_le_u32_e32 vcc, s46, v8
	v_addc_co_u32_e64 v27, s[0:1], 0, v11, s[0:1]
	v_cndmask_b32_e64 v8, 0, -1, vcc
	v_cmp_eq_u32_e32 vcc, s47, v9
	v_cmp_ne_u32_e64 s[0:1], 0, v23
	v_cndmask_b32_e32 v8, v22, v8, vcc
	v_cmp_ne_u32_e32 vcc, 0, v8
	v_cndmask_b32_e64 v9, v26, v24, s[0:1]
	v_cndmask_b32_e64 v23, v27, v25, s[0:1]
	v_cndmask_b32_e32 v9, v10, v9, vcc
	v_xor_b32_e32 v10, s4, v19
	v_cndmask_b32_e32 v8, v11, v23, vcc
	v_xor_b32_e32 v9, v9, v10
	v_xor_b32_e32 v8, v8, v10
	v_sub_co_u32_e32 v22, vcc, v9, v10
	v_subb_co_u32_e32 v23, vcc, v8, v10, vcc
.LBB28_11:                              ;   in Loop: Header=BB28_9 Depth=1
	s_or_saveexec_b64 s[0:1], s[2:3]
	v_cvt_f32_u32_e32 v8, s8
	v_rcp_iflag_f32_e32 v8, v8
	s_xor_b64 exec, exec, s[0:1]
	s_cbranch_execz .LBB28_13
; %bb.12:                               ;   in Loop: Header=BB28_9 Depth=1
	v_mul_f32_e32 v9, 0x4f7ffffe, v8
	v_cvt_u32_f32_e32 v9, v9
	s_sub_i32 s2, 0, s8
	v_mov_b32_e32 v23, v18
	v_mul_lo_u32 v10, s2, v9
	v_mul_hi_u32 v10, v9, v10
	v_add_u32_e32 v9, v9, v10
	v_mul_hi_u32 v9, v4, v9
	v_mul_lo_u32 v10, v9, s8
	v_sub_u32_e32 v10, v4, v10
	v_add_u32_e32 v11, 1, v9
	v_subrev_u32_e32 v19, s8, v10
	v_cmp_le_u32_e32 vcc, s8, v10
	v_cndmask_b32_e32 v10, v10, v19, vcc
	v_cndmask_b32_e32 v9, v9, v11, vcc
	v_add_u32_e32 v11, 1, v9
	v_cmp_le_u32_e32 vcc, s8, v10
	v_cndmask_b32_e32 v22, v9, v11, vcc
.LBB28_13:                              ;   in Loop: Header=BB28_9 Depth=1
	s_or_b64 exec, exec, s[0:1]
	v_or_b32_e32 v19, s9, v7
	v_cmp_ne_u64_e32 vcc, 0, v[18:19]
                                        ; implicit-def: $vgpr24_vgpr25
	s_and_saveexec_b64 s[0:1], vcc
	s_xor_b64 s[2:3], exec, s[0:1]
	s_cbranch_execz .LBB28_15
; %bb.14:                               ;   in Loop: Header=BB28_9 Depth=1
	s_ashr_i32 s4, s9, 31
	s_add_u32 s0, s8, s4
	s_mov_b32 s5, s4
	s_addc_u32 s1, s9, s4
	s_xor_b64 s[46:47], s[0:1], s[4:5]
	v_cvt_f32_u32_e32 v8, s46
	v_cvt_f32_u32_e32 v9, s47
	s_sub_u32 s0, 0, s46
	s_subb_u32 s1, 0, s47
	v_mac_f32_e32 v8, 0x4f800000, v9
	v_rcp_f32_e32 v8, v8
	v_mul_f32_e32 v8, 0x5f7ffffc, v8
	v_mul_f32_e32 v9, 0x2f800000, v8
	v_trunc_f32_e32 v9, v9
	v_mac_f32_e32 v8, 0xcf800000, v9
	v_cvt_u32_f32_e32 v9, v9
	v_cvt_u32_f32_e32 v8, v8
	v_mul_lo_u32 v10, s0, v9
	v_mul_hi_u32 v19, s0, v8
	v_mul_lo_u32 v11, s1, v8
	v_add_u32_e32 v10, v19, v10
	v_mul_lo_u32 v24, s0, v8
	v_add_u32_e32 v10, v10, v11
	v_mul_lo_u32 v19, v8, v10
	v_mul_hi_u32 v25, v8, v24
	v_mul_hi_u32 v11, v8, v10
	v_add_co_u32_e32 v19, vcc, v25, v19
	v_addc_co_u32_e32 v11, vcc, 0, v11, vcc
	v_mul_hi_u32 v26, v9, v24
	v_mul_lo_u32 v24, v9, v24
	v_add_co_u32_e32 v19, vcc, v19, v24
	v_mul_hi_u32 v25, v9, v10
	v_addc_co_u32_e32 v11, vcc, v11, v26, vcc
	v_addc_co_u32_e32 v19, vcc, 0, v25, vcc
	v_mul_lo_u32 v10, v9, v10
	v_add_co_u32_e32 v10, vcc, v11, v10
	v_addc_co_u32_e32 v11, vcc, 0, v19, vcc
	v_add_co_u32_e32 v8, vcc, v8, v10
	v_addc_co_u32_e32 v9, vcc, v9, v11, vcc
	v_mul_lo_u32 v10, s0, v9
	v_mul_hi_u32 v11, s0, v8
	v_add_u32_e32 v10, v11, v10
	v_mul_lo_u32 v11, s1, v8
	v_add_u32_e32 v10, v10, v11
	v_mul_lo_u32 v19, s0, v8
	v_mul_hi_u32 v24, v9, v19
	v_mul_lo_u32 v25, v9, v19
	v_mul_lo_u32 v27, v8, v10
	v_mul_hi_u32 v19, v8, v19
	v_mul_hi_u32 v26, v8, v10
	v_add_co_u32_e32 v19, vcc, v19, v27
	v_addc_co_u32_e32 v26, vcc, 0, v26, vcc
	v_add_co_u32_e32 v19, vcc, v19, v25
	v_mul_hi_u32 v11, v9, v10
	v_addc_co_u32_e32 v19, vcc, v26, v24, vcc
	v_addc_co_u32_e32 v11, vcc, 0, v11, vcc
	v_mul_lo_u32 v10, v9, v10
	v_add_co_u32_e32 v10, vcc, v19, v10
	v_addc_co_u32_e32 v11, vcc, 0, v11, vcc
	v_add_co_u32_e32 v10, vcc, v8, v10
	v_addc_co_u32_e32 v11, vcc, v9, v11, vcc
	v_ashrrev_i32_e32 v19, 31, v7
	v_add_co_u32_e32 v8, vcc, v6, v19
	v_addc_co_u32_e32 v9, vcc, v7, v19, vcc
	v_xor_b32_e32 v25, v8, v19
	v_xor_b32_e32 v24, v9, v19
	v_mad_u64_u32 v[8:9], s[0:1], v25, v11, 0
	v_mul_hi_u32 v26, v25, v10
	v_add_co_u32_e32 v26, vcc, v26, v8
	v_addc_co_u32_e32 v27, vcc, 0, v9, vcc
	v_mad_u64_u32 v[8:9], s[0:1], v24, v11, 0
	v_mad_u64_u32 v[10:11], s[0:1], v24, v10, 0
	v_add_co_u32_e32 v10, vcc, v26, v10
	v_addc_co_u32_e32 v10, vcc, v27, v11, vcc
	v_addc_co_u32_e32 v9, vcc, 0, v9, vcc
	v_add_co_u32_e32 v10, vcc, v10, v8
	v_addc_co_u32_e32 v11, vcc, 0, v9, vcc
	v_mul_lo_u32 v26, s47, v10
	v_mul_lo_u32 v27, s46, v11
	v_mad_u64_u32 v[8:9], s[0:1], s46, v10, 0
	v_add3_u32 v9, v9, v27, v26
	v_sub_u32_e32 v26, v24, v9
	v_mov_b32_e32 v27, s47
	v_sub_co_u32_e32 v8, vcc, v25, v8
	v_subb_co_u32_e64 v25, s[0:1], v26, v27, vcc
	v_subrev_co_u32_e64 v26, s[0:1], s46, v8
	v_subbrev_co_u32_e64 v25, s[0:1], 0, v25, s[0:1]
	v_cmp_le_u32_e64 s[0:1], s47, v25
	v_cndmask_b32_e64 v27, 0, -1, s[0:1]
	v_cmp_le_u32_e64 s[0:1], s46, v26
	v_cndmask_b32_e64 v26, 0, -1, s[0:1]
	v_cmp_eq_u32_e64 s[0:1], s47, v25
	v_cndmask_b32_e64 v25, v27, v26, s[0:1]
	v_add_co_u32_e64 v26, s[0:1], 2, v10
	v_subb_co_u32_e32 v9, vcc, v24, v9, vcc
	v_addc_co_u32_e64 v27, s[0:1], 0, v11, s[0:1]
	v_cmp_le_u32_e32 vcc, s47, v9
	v_add_co_u32_e64 v28, s[0:1], 1, v10
	v_cndmask_b32_e64 v24, 0, -1, vcc
	v_cmp_le_u32_e32 vcc, s46, v8
	v_addc_co_u32_e64 v29, s[0:1], 0, v11, s[0:1]
	v_cndmask_b32_e64 v8, 0, -1, vcc
	v_cmp_eq_u32_e32 vcc, s47, v9
	v_cmp_ne_u32_e64 s[0:1], 0, v25
	v_cndmask_b32_e32 v8, v24, v8, vcc
	v_cmp_ne_u32_e32 vcc, 0, v8
	v_cndmask_b32_e64 v9, v28, v26, s[0:1]
	v_cndmask_b32_e64 v25, v29, v27, s[0:1]
	v_cndmask_b32_e32 v9, v10, v9, vcc
	v_xor_b32_e32 v10, s4, v19
	v_cndmask_b32_e32 v8, v11, v25, vcc
	v_xor_b32_e32 v9, v9, v10
	v_xor_b32_e32 v8, v8, v10
	v_sub_co_u32_e32 v24, vcc, v9, v10
	v_subb_co_u32_e32 v25, vcc, v8, v10, vcc
                                        ; implicit-def: $vgpr8
.LBB28_15:                              ;   in Loop: Header=BB28_9 Depth=1
	s_andn2_saveexec_b64 s[0:1], s[2:3]
	s_cbranch_execz .LBB28_17
; %bb.16:                               ;   in Loop: Header=BB28_9 Depth=1
	v_mul_f32_e32 v8, 0x4f7ffffe, v8
	v_cvt_u32_f32_e32 v8, v8
	s_sub_i32 s2, 0, s8
	v_mov_b32_e32 v25, v18
	v_mul_lo_u32 v9, s2, v8
	v_mul_hi_u32 v9, v8, v9
	v_add_u32_e32 v8, v8, v9
	v_mul_hi_u32 v8, v6, v8
	v_mul_lo_u32 v9, v8, s8
	v_sub_u32_e32 v9, v6, v9
	v_add_u32_e32 v10, 1, v8
	v_subrev_u32_e32 v11, s8, v9
	v_cmp_le_u32_e32 vcc, s8, v9
	v_cndmask_b32_e32 v9, v9, v11, vcc
	v_cndmask_b32_e32 v8, v8, v10, vcc
	v_add_u32_e32 v10, 1, v8
	v_cmp_le_u32_e32 vcc, s8, v9
	v_cndmask_b32_e32 v24, v8, v10, vcc
.LBB28_17:                              ;   in Loop: Header=BB28_9 Depth=1
	s_or_b64 exec, exec, s[0:1]
	v_cndmask_b32_e64 v8, 0, 1, s[42:43]
	v_cmp_ne_u32_e64 s[0:1], 1, v8
	s_andn2_b64 vcc, exec, s[42:43]
                                        ; implicit-def: $vgpr8_vgpr9_vgpr10_vgpr11
	s_cbranch_vccnz .LBB28_23
; %bb.18:                               ;   in Loop: Header=BB28_9 Depth=1
	v_mov_b32_e32 v9, s33
	v_add_co_u32_e32 v8, vcc, s50, v0
	v_addc_co_u32_e32 v9, vcc, v9, v1, vcc
	v_mul_lo_u32 v19, s30, v23
	v_mul_lo_u32 v26, s31, v22
	v_mad_u64_u32 v[10:11], s[2:3], s30, v22, v[8:9]
	v_add3_u32 v11, v26, v11, v19
	v_or_b32_e32 v19, s23, v11
	v_cmp_ne_u64_e32 vcc, 0, v[18:19]
                                        ; implicit-def: $vgpr8_vgpr9
	s_and_saveexec_b64 s[2:3], vcc
	s_xor_b64 s[46:47], exec, s[2:3]
	s_cbranch_execz .LBB28_20
; %bb.19:                               ;   in Loop: Header=BB28_9 Depth=1
	s_ashr_i32 s2, s23, 31
	s_add_u32 s4, s22, s2
	s_mov_b32 s3, s2
	s_addc_u32 s5, s23, s2
	s_xor_b64 s[48:49], s[4:5], s[2:3]
	v_cvt_f32_u32_e32 v8, s48
	v_cvt_f32_u32_e32 v9, s49
	s_sub_u32 s2, 0, s48
	s_subb_u32 s3, 0, s49
	v_mac_f32_e32 v8, 0x4f800000, v9
	v_rcp_f32_e32 v8, v8
	v_mul_f32_e32 v8, 0x5f7ffffc, v8
	v_mul_f32_e32 v9, 0x2f800000, v8
	v_trunc_f32_e32 v9, v9
	v_mac_f32_e32 v8, 0xcf800000, v9
	v_cvt_u32_f32_e32 v9, v9
	v_cvt_u32_f32_e32 v8, v8
	v_mul_lo_u32 v19, s2, v9
	v_mul_hi_u32 v27, s2, v8
	v_mul_lo_u32 v26, s3, v8
	v_add_u32_e32 v19, v27, v19
	v_mul_lo_u32 v28, s2, v8
	v_add_u32_e32 v19, v19, v26
	v_mul_lo_u32 v27, v8, v19
	v_mul_hi_u32 v29, v8, v28
	v_mul_hi_u32 v26, v8, v19
	v_add_co_u32_e32 v27, vcc, v29, v27
	v_addc_co_u32_e32 v26, vcc, 0, v26, vcc
	v_mul_hi_u32 v30, v9, v28
	v_mul_lo_u32 v28, v9, v28
	v_add_co_u32_e32 v27, vcc, v27, v28
	v_mul_hi_u32 v29, v9, v19
	v_addc_co_u32_e32 v26, vcc, v26, v30, vcc
	v_addc_co_u32_e32 v27, vcc, 0, v29, vcc
	v_mul_lo_u32 v19, v9, v19
	v_add_co_u32_e32 v19, vcc, v26, v19
	v_addc_co_u32_e32 v26, vcc, 0, v27, vcc
	v_add_co_u32_e32 v8, vcc, v8, v19
	v_addc_co_u32_e32 v9, vcc, v9, v26, vcc
	v_mul_lo_u32 v19, s2, v9
	v_mul_hi_u32 v26, s2, v8
	v_add_u32_e32 v19, v26, v19
	v_mul_lo_u32 v26, s3, v8
	v_add_u32_e32 v19, v19, v26
	v_mul_lo_u32 v27, s2, v8
	v_mul_hi_u32 v28, v9, v27
	v_mul_lo_u32 v29, v9, v27
	v_mul_lo_u32 v31, v8, v19
	v_mul_hi_u32 v27, v8, v27
	v_mul_hi_u32 v30, v8, v19
	v_add_co_u32_e32 v27, vcc, v27, v31
	v_addc_co_u32_e32 v30, vcc, 0, v30, vcc
	v_add_co_u32_e32 v27, vcc, v27, v29
	v_mul_hi_u32 v26, v9, v19
	v_addc_co_u32_e32 v27, vcc, v30, v28, vcc
	v_addc_co_u32_e32 v26, vcc, 0, v26, vcc
	v_mul_lo_u32 v19, v9, v19
	v_add_co_u32_e32 v19, vcc, v27, v19
	v_addc_co_u32_e32 v26, vcc, 0, v26, vcc
	v_add_co_u32_e32 v19, vcc, v8, v19
	v_addc_co_u32_e32 v26, vcc, v9, v26, vcc
	v_ashrrev_i32_e32 v27, 31, v11
	v_add_co_u32_e32 v8, vcc, v10, v27
	v_addc_co_u32_e32 v9, vcc, v11, v27, vcc
	v_xor_b32_e32 v29, v8, v27
	v_xor_b32_e32 v28, v9, v27
	v_mad_u64_u32 v[8:9], s[2:3], v29, v26, 0
	v_mul_hi_u32 v10, v29, v19
	v_add_co_u32_e32 v30, vcc, v10, v8
	v_addc_co_u32_e32 v31, vcc, 0, v9, vcc
	v_mad_u64_u32 v[10:11], s[2:3], v28, v19, 0
	v_add_co_u32_e32 v10, vcc, v30, v10
	v_mad_u64_u32 v[8:9], s[2:3], v28, v26, 0
	v_addc_co_u32_e32 v10, vcc, v31, v11, vcc
	v_addc_co_u32_e32 v9, vcc, 0, v9, vcc
	v_add_co_u32_e32 v8, vcc, v10, v8
	v_addc_co_u32_e32 v9, vcc, 0, v9, vcc
	v_mul_lo_u32 v10, s49, v8
	v_mul_lo_u32 v11, s48, v9
	v_mad_u64_u32 v[8:9], s[2:3], s48, v8, 0
	v_add3_u32 v9, v9, v11, v10
	v_sub_u32_e32 v10, v28, v9
	v_mov_b32_e32 v11, s49
	v_sub_co_u32_e32 v8, vcc, v29, v8
	v_subb_co_u32_e64 v10, s[2:3], v10, v11, vcc
	v_subrev_co_u32_e64 v19, s[2:3], s48, v8
	v_subbrev_co_u32_e64 v26, s[4:5], 0, v10, s[2:3]
	v_cmp_le_u32_e64 s[4:5], s49, v26
	v_cndmask_b32_e64 v29, 0, -1, s[4:5]
	v_cmp_le_u32_e64 s[4:5], s48, v19
	v_subb_co_u32_e64 v10, s[2:3], v10, v11, s[2:3]
	v_cndmask_b32_e64 v30, 0, -1, s[4:5]
	v_cmp_eq_u32_e64 s[4:5], s49, v26
	v_subrev_co_u32_e64 v11, s[2:3], s48, v19
	v_cndmask_b32_e64 v29, v29, v30, s[4:5]
	v_subbrev_co_u32_e64 v10, s[2:3], 0, v10, s[2:3]
	v_subb_co_u32_e32 v9, vcc, v28, v9, vcc
	v_cmp_ne_u32_e64 s[2:3], 0, v29
	v_cmp_le_u32_e32 vcc, s49, v9
	v_cndmask_b32_e64 v10, v26, v10, s[2:3]
	v_cndmask_b32_e64 v26, 0, -1, vcc
	v_cmp_le_u32_e32 vcc, s48, v8
	v_cndmask_b32_e64 v28, 0, -1, vcc
	v_cmp_eq_u32_e32 vcc, s49, v9
	v_cndmask_b32_e32 v26, v26, v28, vcc
	v_cmp_ne_u32_e32 vcc, 0, v26
	v_cndmask_b32_e32 v9, v9, v10, vcc
	v_cndmask_b32_e64 v10, v19, v11, s[2:3]
	v_cndmask_b32_e32 v8, v8, v10, vcc
	v_xor_b32_e32 v8, v8, v27
	v_xor_b32_e32 v9, v9, v27
	v_sub_co_u32_e32 v8, vcc, v8, v27
	v_subb_co_u32_e32 v9, vcc, v9, v27, vcc
                                        ; implicit-def: $vgpr10_vgpr11
.LBB28_20:                              ;   in Loop: Header=BB28_9 Depth=1
	s_andn2_saveexec_b64 s[2:3], s[46:47]
	s_cbranch_execz .LBB28_22
; %bb.21:                               ;   in Loop: Header=BB28_9 Depth=1
	v_cvt_f32_u32_e32 v8, s22
	s_sub_i32 s4, 0, s22
	v_rcp_iflag_f32_e32 v8, v8
	v_mul_f32_e32 v8, 0x4f7ffffe, v8
	v_cvt_u32_f32_e32 v8, v8
	v_mul_lo_u32 v9, s4, v8
	v_mul_hi_u32 v9, v8, v9
	v_add_u32_e32 v8, v8, v9
	v_mul_hi_u32 v8, v10, v8
	v_mul_lo_u32 v8, v8, s22
	v_sub_u32_e32 v8, v10, v8
	v_subrev_u32_e32 v9, s22, v8
	v_cmp_le_u32_e32 vcc, s22, v8
	v_cndmask_b32_e32 v8, v8, v9, vcc
	v_subrev_u32_e32 v9, s22, v8
	v_cmp_le_u32_e32 vcc, s22, v8
	v_cndmask_b32_e32 v8, v8, v9, vcc
	v_mov_b32_e32 v9, v18
.LBB28_22:                              ;   in Loop: Header=BB28_9 Depth=1
	s_or_b64 exec, exec, s[2:3]
                                        ; kill: def $vgpr10 killed $sgpr0 killed $exec
.LBB28_23:                              ;   in Loop: Header=BB28_9 Depth=1
	s_and_b64 vcc, exec, s[0:1]
	s_cbranch_vccnz .LBB28_8
; %bb.24:                               ;   in Loop: Header=BB28_9 Depth=1
	v_mov_b32_e32 v11, s51
	v_add_co_u32_e32 v10, vcc, s52, v0
	v_addc_co_u32_e32 v11, vcc, v11, v1, vcc
	v_mul_lo_u32 v19, s30, v25
	v_mul_lo_u32 v28, s31, v24
	v_mad_u64_u32 v[26:27], s[0:1], s30, v24, v[10:11]
	v_add3_u32 v27, v28, v27, v19
	v_or_b32_e32 v19, s23, v27
	v_cmp_ne_u64_e32 vcc, 0, v[18:19]
                                        ; kill: def $vgpr10_vgpr11 killed $sgpr0_sgpr1 killed $exec
	s_and_saveexec_b64 s[0:1], vcc
	s_xor_b64 s[4:5], exec, s[0:1]
	s_cbranch_execz .LBB28_26
; %bb.25:                               ;   in Loop: Header=BB28_9 Depth=1
	s_ashr_i32 s0, s23, 31
	s_add_u32 s2, s22, s0
	s_mov_b32 s1, s0
	s_addc_u32 s3, s23, s0
	s_xor_b64 s[46:47], s[2:3], s[0:1]
	v_cvt_f32_u32_e32 v10, s46
	v_cvt_f32_u32_e32 v11, s47
	s_sub_u32 s0, 0, s46
	s_subb_u32 s1, 0, s47
	v_mac_f32_e32 v10, 0x4f800000, v11
	v_rcp_f32_e32 v10, v10
	v_mul_f32_e32 v10, 0x5f7ffffc, v10
	v_mul_f32_e32 v11, 0x2f800000, v10
	v_trunc_f32_e32 v11, v11
	v_mac_f32_e32 v10, 0xcf800000, v11
	v_cvt_u32_f32_e32 v11, v11
	v_cvt_u32_f32_e32 v10, v10
	v_mul_lo_u32 v19, s0, v11
	v_mul_hi_u32 v29, s0, v10
	v_mul_lo_u32 v28, s1, v10
	v_add_u32_e32 v19, v29, v19
	v_mul_lo_u32 v30, s0, v10
	v_add_u32_e32 v19, v19, v28
	v_mul_lo_u32 v29, v10, v19
	v_mul_hi_u32 v31, v10, v30
	v_mul_hi_u32 v28, v10, v19
	v_add_co_u32_e32 v29, vcc, v31, v29
	v_addc_co_u32_e32 v28, vcc, 0, v28, vcc
	v_mul_hi_u32 v32, v11, v30
	v_mul_lo_u32 v30, v11, v30
	v_add_co_u32_e32 v29, vcc, v29, v30
	v_mul_hi_u32 v31, v11, v19
	v_addc_co_u32_e32 v28, vcc, v28, v32, vcc
	v_addc_co_u32_e32 v29, vcc, 0, v31, vcc
	v_mul_lo_u32 v19, v11, v19
	v_add_co_u32_e32 v19, vcc, v28, v19
	v_addc_co_u32_e32 v28, vcc, 0, v29, vcc
	v_add_co_u32_e32 v10, vcc, v10, v19
	v_addc_co_u32_e32 v11, vcc, v11, v28, vcc
	v_mul_lo_u32 v19, s0, v11
	v_mul_hi_u32 v28, s0, v10
	v_add_u32_e32 v19, v28, v19
	v_mul_lo_u32 v28, s1, v10
	v_add_u32_e32 v19, v19, v28
	v_mul_lo_u32 v29, s0, v10
	v_mul_hi_u32 v30, v11, v29
	v_mul_lo_u32 v31, v11, v29
	v_mul_lo_u32 v33, v10, v19
	v_mul_hi_u32 v29, v10, v29
	v_mul_hi_u32 v32, v10, v19
	v_add_co_u32_e32 v29, vcc, v29, v33
	v_addc_co_u32_e32 v32, vcc, 0, v32, vcc
	v_add_co_u32_e32 v29, vcc, v29, v31
	v_mul_hi_u32 v28, v11, v19
	v_addc_co_u32_e32 v29, vcc, v32, v30, vcc
	v_addc_co_u32_e32 v28, vcc, 0, v28, vcc
	v_mul_lo_u32 v19, v11, v19
	v_add_co_u32_e32 v19, vcc, v29, v19
	v_addc_co_u32_e32 v28, vcc, 0, v28, vcc
	v_add_co_u32_e32 v19, vcc, v10, v19
	v_addc_co_u32_e32 v28, vcc, v11, v28, vcc
	v_ashrrev_i32_e32 v29, 31, v27
	v_add_co_u32_e32 v10, vcc, v26, v29
	v_addc_co_u32_e32 v11, vcc, v27, v29, vcc
	v_xor_b32_e32 v31, v10, v29
	v_xor_b32_e32 v30, v11, v29
	v_mad_u64_u32 v[10:11], s[0:1], v31, v28, 0
	v_mul_hi_u32 v26, v31, v19
	v_add_co_u32_e32 v32, vcc, v26, v10
	v_addc_co_u32_e32 v33, vcc, 0, v11, vcc
	v_mad_u64_u32 v[26:27], s[0:1], v30, v19, 0
	v_add_co_u32_e32 v19, vcc, v32, v26
	v_mad_u64_u32 v[10:11], s[0:1], v30, v28, 0
	v_addc_co_u32_e32 v19, vcc, v33, v27, vcc
	v_addc_co_u32_e32 v11, vcc, 0, v11, vcc
	v_add_co_u32_e32 v10, vcc, v19, v10
	v_addc_co_u32_e32 v11, vcc, 0, v11, vcc
	v_mul_lo_u32 v19, s47, v10
	v_mul_lo_u32 v26, s46, v11
	v_mad_u64_u32 v[10:11], s[0:1], s46, v10, 0
	v_add3_u32 v11, v11, v26, v19
	v_sub_u32_e32 v19, v30, v11
	v_mov_b32_e32 v26, s47
	v_sub_co_u32_e32 v10, vcc, v31, v10
	v_subb_co_u32_e64 v19, s[0:1], v19, v26, vcc
	v_subrev_co_u32_e64 v27, s[0:1], s46, v10
	v_subbrev_co_u32_e64 v28, s[2:3], 0, v19, s[0:1]
	v_cmp_le_u32_e64 s[2:3], s47, v28
	v_cndmask_b32_e64 v31, 0, -1, s[2:3]
	v_cmp_le_u32_e64 s[2:3], s46, v27
	v_subb_co_u32_e64 v19, s[0:1], v19, v26, s[0:1]
	v_cndmask_b32_e64 v32, 0, -1, s[2:3]
	v_cmp_eq_u32_e64 s[2:3], s47, v28
	v_subrev_co_u32_e64 v26, s[0:1], s46, v27
	v_cndmask_b32_e64 v31, v31, v32, s[2:3]
	v_subbrev_co_u32_e64 v19, s[0:1], 0, v19, s[0:1]
	v_subb_co_u32_e32 v11, vcc, v30, v11, vcc
	v_cmp_ne_u32_e64 s[0:1], 0, v31
	v_cmp_le_u32_e32 vcc, s47, v11
	v_cndmask_b32_e64 v19, v28, v19, s[0:1]
	v_cndmask_b32_e64 v28, 0, -1, vcc
	v_cmp_le_u32_e32 vcc, s46, v10
	v_cndmask_b32_e64 v30, 0, -1, vcc
	v_cmp_eq_u32_e32 vcc, s47, v11
	v_cndmask_b32_e32 v28, v28, v30, vcc
	v_cmp_ne_u32_e32 vcc, 0, v28
	v_cndmask_b32_e32 v11, v11, v19, vcc
	v_cndmask_b32_e64 v19, v27, v26, s[0:1]
	v_cndmask_b32_e32 v10, v10, v19, vcc
	v_xor_b32_e32 v10, v10, v29
	v_xor_b32_e32 v11, v11, v29
	v_sub_co_u32_e32 v10, vcc, v10, v29
	v_subb_co_u32_e32 v11, vcc, v11, v29, vcc
                                        ; implicit-def: $vgpr26_vgpr27
.LBB28_26:                              ;   in Loop: Header=BB28_9 Depth=1
	s_andn2_saveexec_b64 s[0:1], s[4:5]
	s_cbranch_execz .LBB28_7
; %bb.27:                               ;   in Loop: Header=BB28_9 Depth=1
	v_cvt_f32_u32_e32 v10, s22
	s_sub_i32 s2, 0, s22
	v_rcp_iflag_f32_e32 v10, v10
	v_mul_f32_e32 v10, 0x4f7ffffe, v10
	v_cvt_u32_f32_e32 v10, v10
	v_mul_lo_u32 v11, s2, v10
	v_mul_hi_u32 v11, v10, v11
	v_add_u32_e32 v10, v10, v11
	v_mul_hi_u32 v10, v26, v10
	v_mul_lo_u32 v10, v10, s22
	v_sub_u32_e32 v10, v26, v10
	v_subrev_u32_e32 v11, s22, v10
	v_cmp_le_u32_e32 vcc, s22, v10
	v_cndmask_b32_e32 v10, v10, v11, vcc
	v_subrev_u32_e32 v11, s22, v10
	v_cmp_le_u32_e32 vcc, s22, v10
	v_cndmask_b32_e32 v10, v10, v11, vcc
	v_mov_b32_e32 v11, v18
	s_branch .LBB28_7
.LBB28_28:
	s_or_b64 exec, exec, s[40:41]
	v_mad_u64_u32 v[2:3], s[0:1], v14, s20, v[2:3]
	v_mul_lo_u32 v0, v14, s21
	v_mul_lo_u32 v1, v15, s20
	v_cmp_ne_u64_e32 vcc, v[12:13], v[14:15]
	v_add3_u32 v3, v1, v3, v0
	s_and_b64 s[0:1], vcc, exec
.LBB28_29:
	s_or_saveexec_b64 s[2:3], s[26:27]
	v_pk_mov_b32 v[0:1], s[30:31], s[30:31] op_sel:[0,1]
	v_pk_mov_b32 v[4:5], s[34:35], s[34:35] op_sel:[0,1]
	s_xor_b64 exec, exec, s[2:3]
; %bb.30:
	s_sub_u32 s4, 0, s8
	s_subb_u32 s5, 0, s9
	s_lshl_b64 s[6:7], s[20:21], 2
	v_pk_mov_b32 v[0:1], s[4:5], s[4:5] op_sel:[0,1]
	v_pk_mov_b32 v[4:5], s[6:7], s[6:7] op_sel:[0,1]
	s_or_b64 s[0:1], s[0:1], exec
; %bb.31:
	s_or_b64 exec, exec, s[2:3]
	s_and_b64 exec, exec, s[0:1]
	s_cbranch_execz .LBB28_44
; %bb.32:
	v_lshlrev_b64 v[6:7], 2, v[2:3]
	s_sub_u32 s26, 0, s18
	v_mov_b32_e32 v8, s15
	v_add_co_u32_e32 v6, vcc, s14, v6
	s_mov_b64 s[4:5], 0
	s_subb_u32 s27, 0, s19
	v_addc_co_u32_e32 v7, vcc, v8, v7, vcc
	v_mov_b32_e32 v8, 0
	s_ashr_i32 s6, s9, 31
	s_sub_i32 s28, 0, s8
	s_branch .LBB28_35
.LBB28_33:                              ;   in Loop: Header=BB28_35 Depth=1
	s_or_b64 exec, exec, s[0:1]
	v_ashrrev_i32_e32 v9, 31, v15
	v_and_b32_e32 v13, s23, v9
	v_and_b32_e32 v9, s22, v9
	v_add_co_u32_e32 v12, vcc, v9, v14
	v_addc_co_u32_e32 v13, vcc, v13, v15, vcc
	v_mov_b32_e32 v9, s23
	v_sub_co_u32_e32 v14, vcc, s22, v12
	v_subb_co_u32_e32 v9, vcc, v9, v13, vcc
	v_cmp_gt_i64_e32 vcc, s[16:17], v[12:13]
	v_cndmask_b32_e32 v13, v9, v13, vcc
	v_cndmask_b32_e32 v12, v14, v12, vcc
.LBB28_34:                              ;   in Loop: Header=BB28_35 Depth=1
	v_mul_lo_u32 v9, v11, s16
	v_mul_lo_u32 v14, v10, s17
	v_mad_u64_u32 v[10:11], s[0:1], v10, s16, 0
	v_add3_u32 v11, v11, v14, v9
	v_lshlrev_b64 v[10:11], 2, v[10:11]
	v_mov_b32_e32 v9, s13
	v_add_co_u32_e32 v14, vcc, s12, v10
	v_addc_co_u32_e32 v9, vcc, v9, v11, vcc
	v_lshlrev_b64 v[10:11], 2, v[12:13]
	v_add_co_u32_e32 v10, vcc, v14, v10
	v_addc_co_u32_e32 v11, vcc, v9, v11, vcc
	global_load_dword v9, v[10:11], off
	v_mov_b32_e32 v10, s21
	v_add_co_u32_e32 v2, vcc, s20, v2
	v_addc_co_u32_e32 v3, vcc, v3, v10, vcc
	v_cmp_le_i64_e32 vcc, s[10:11], v[2:3]
	s_or_b64 s[4:5], vcc, s[4:5]
	s_waitcnt vmcnt(0)
	global_store_dword v[6:7], v9, off
	v_add_co_u32_e32 v6, vcc, v6, v4
	v_addc_co_u32_e32 v7, vcc, v7, v5, vcc
	s_andn2_b64 exec, exec, s[4:5]
	s_cbranch_execz .LBB28_44
.LBB28_35:                              ; =>This Inner Loop Header: Depth=1
	v_or_b32_e32 v9, s9, v3
	v_cmp_ne_u64_e32 vcc, 0, v[8:9]
                                        ; implicit-def: $vgpr10_vgpr11
	s_and_saveexec_b64 s[0:1], vcc
	s_xor_b64 s[2:3], exec, s[0:1]
	s_cbranch_execnz .LBB28_38
; %bb.36:                               ;   in Loop: Header=BB28_35 Depth=1
	s_andn2_saveexec_b64 s[0:1], s[2:3]
	s_cbranch_execnz .LBB28_39
.LBB28_37:                              ;   in Loop: Header=BB28_35 Depth=1
	s_or_b64 exec, exec, s[0:1]
	s_andn2_b64 vcc, exec, s[24:25]
	v_pk_mov_b32 v[12:13], 0, 0
	s_cbranch_vccnz .LBB28_34
	s_branch .LBB28_40
.LBB28_38:                              ;   in Loop: Header=BB28_35 Depth=1
	s_add_u32 s0, s8, s6
	s_mov_b32 s7, s6
	s_addc_u32 s1, s9, s6
	s_xor_b64 s[14:15], s[0:1], s[6:7]
	v_cvt_f32_u32_e32 v9, s14
	v_cvt_f32_u32_e32 v10, s15
	s_sub_u32 s0, 0, s14
	s_subb_u32 s1, 0, s15
	v_mac_f32_e32 v9, 0x4f800000, v10
	v_rcp_f32_e32 v9, v9
	v_mul_f32_e32 v9, 0x5f7ffffc, v9
	v_mul_f32_e32 v10, 0x2f800000, v9
	v_trunc_f32_e32 v10, v10
	v_mac_f32_e32 v9, 0xcf800000, v10
	v_cvt_u32_f32_e32 v10, v10
	v_cvt_u32_f32_e32 v9, v9
	v_mul_lo_u32 v11, s0, v10
	v_mul_hi_u32 v13, s0, v9
	v_mul_lo_u32 v12, s1, v9
	v_add_u32_e32 v11, v13, v11
	v_mul_lo_u32 v14, s0, v9
	v_add_u32_e32 v11, v11, v12
	v_mul_lo_u32 v13, v9, v11
	v_mul_hi_u32 v15, v9, v14
	v_mul_hi_u32 v12, v9, v11
	v_add_co_u32_e32 v13, vcc, v15, v13
	v_addc_co_u32_e32 v12, vcc, 0, v12, vcc
	v_mul_hi_u32 v16, v10, v14
	v_mul_lo_u32 v14, v10, v14
	v_add_co_u32_e32 v13, vcc, v13, v14
	v_mul_hi_u32 v15, v10, v11
	v_addc_co_u32_e32 v12, vcc, v12, v16, vcc
	v_addc_co_u32_e32 v13, vcc, 0, v15, vcc
	v_mul_lo_u32 v11, v10, v11
	v_add_co_u32_e32 v11, vcc, v12, v11
	v_addc_co_u32_e32 v12, vcc, 0, v13, vcc
	v_add_co_u32_e32 v9, vcc, v9, v11
	v_addc_co_u32_e32 v10, vcc, v10, v12, vcc
	v_mul_lo_u32 v11, s0, v10
	v_mul_hi_u32 v12, s0, v9
	v_add_u32_e32 v11, v12, v11
	v_mul_lo_u32 v12, s1, v9
	v_add_u32_e32 v11, v11, v12
	v_mul_lo_u32 v13, s0, v9
	v_mul_hi_u32 v14, v10, v13
	v_mul_lo_u32 v15, v10, v13
	v_mul_lo_u32 v17, v9, v11
	v_mul_hi_u32 v13, v9, v13
	v_mul_hi_u32 v16, v9, v11
	v_add_co_u32_e32 v13, vcc, v13, v17
	v_addc_co_u32_e32 v16, vcc, 0, v16, vcc
	v_add_co_u32_e32 v13, vcc, v13, v15
	v_mul_hi_u32 v12, v10, v11
	v_addc_co_u32_e32 v13, vcc, v16, v14, vcc
	v_addc_co_u32_e32 v12, vcc, 0, v12, vcc
	v_mul_lo_u32 v11, v10, v11
	v_add_co_u32_e32 v11, vcc, v13, v11
	v_addc_co_u32_e32 v12, vcc, 0, v12, vcc
	v_add_co_u32_e32 v9, vcc, v9, v11
	v_addc_co_u32_e32 v12, vcc, v10, v12, vcc
	v_ashrrev_i32_e32 v14, 31, v3
	v_add_co_u32_e32 v10, vcc, v2, v14
	v_addc_co_u32_e32 v11, vcc, v3, v14, vcc
	v_xor_b32_e32 v16, v10, v14
	v_xor_b32_e32 v15, v11, v14
	v_mad_u64_u32 v[10:11], s[0:1], v16, v12, 0
	v_mul_hi_u32 v13, v16, v9
	v_add_co_u32_e32 v17, vcc, v13, v10
	v_addc_co_u32_e32 v18, vcc, 0, v11, vcc
	v_mad_u64_u32 v[10:11], s[0:1], v15, v12, 0
	v_mad_u64_u32 v[12:13], s[0:1], v15, v9, 0
	v_add_co_u32_e32 v9, vcc, v17, v12
	v_addc_co_u32_e32 v9, vcc, v18, v13, vcc
	v_addc_co_u32_e32 v11, vcc, 0, v11, vcc
	v_add_co_u32_e32 v9, vcc, v9, v10
	v_addc_co_u32_e32 v12, vcc, 0, v11, vcc
	v_mul_lo_u32 v13, s15, v9
	v_mul_lo_u32 v17, s14, v12
	v_mad_u64_u32 v[10:11], s[0:1], s14, v9, 0
	v_add3_u32 v11, v11, v17, v13
	v_sub_u32_e32 v13, v15, v11
	v_mov_b32_e32 v17, s15
	v_sub_co_u32_e32 v10, vcc, v16, v10
	v_subb_co_u32_e64 v13, s[0:1], v13, v17, vcc
	v_subrev_co_u32_e64 v16, s[0:1], s14, v10
	v_subbrev_co_u32_e64 v13, s[0:1], 0, v13, s[0:1]
	v_cmp_le_u32_e64 s[0:1], s15, v13
	v_cndmask_b32_e64 v17, 0, -1, s[0:1]
	v_cmp_le_u32_e64 s[0:1], s14, v16
	v_cndmask_b32_e64 v16, 0, -1, s[0:1]
	v_cmp_eq_u32_e64 s[0:1], s15, v13
	v_cndmask_b32_e64 v13, v17, v16, s[0:1]
	v_add_co_u32_e64 v16, s[0:1], 2, v9
	v_subb_co_u32_e32 v11, vcc, v15, v11, vcc
	v_addc_co_u32_e64 v17, s[0:1], 0, v12, s[0:1]
	v_cmp_le_u32_e32 vcc, s15, v11
	v_add_co_u32_e64 v18, s[0:1], 1, v9
	v_cndmask_b32_e64 v15, 0, -1, vcc
	v_cmp_le_u32_e32 vcc, s14, v10
	v_addc_co_u32_e64 v19, s[0:1], 0, v12, s[0:1]
	v_cndmask_b32_e64 v10, 0, -1, vcc
	v_cmp_eq_u32_e32 vcc, s15, v11
	v_cmp_ne_u32_e64 s[0:1], 0, v13
	v_cndmask_b32_e32 v10, v15, v10, vcc
	v_cmp_ne_u32_e32 vcc, 0, v10
	v_cndmask_b32_e64 v11, v18, v16, s[0:1]
	v_cndmask_b32_e64 v13, v19, v17, s[0:1]
	v_cndmask_b32_e32 v9, v9, v11, vcc
	v_xor_b32_e32 v11, s6, v14
	v_cndmask_b32_e32 v10, v12, v13, vcc
	v_xor_b32_e32 v9, v9, v11
	v_xor_b32_e32 v12, v10, v11
	v_sub_co_u32_e32 v10, vcc, v9, v11
	v_subb_co_u32_e32 v11, vcc, v12, v11, vcc
	s_andn2_saveexec_b64 s[0:1], s[2:3]
	s_cbranch_execz .LBB28_37
.LBB28_39:                              ;   in Loop: Header=BB28_35 Depth=1
	v_cvt_f32_u32_e32 v9, s8
	v_rcp_iflag_f32_e32 v9, v9
	v_mul_f32_e32 v9, 0x4f7ffffe, v9
	v_cvt_u32_f32_e32 v9, v9
	v_mul_lo_u32 v10, s28, v9
	v_mul_hi_u32 v10, v9, v10
	v_add_u32_e32 v9, v9, v10
	v_mul_hi_u32 v9, v2, v9
	v_mul_lo_u32 v10, v9, s8
	v_sub_u32_e32 v10, v2, v10
	v_add_u32_e32 v11, 1, v9
	v_subrev_u32_e32 v12, s8, v10
	v_cmp_le_u32_e32 vcc, s8, v10
	v_cndmask_b32_e32 v10, v10, v12, vcc
	v_cndmask_b32_e32 v9, v9, v11, vcc
	v_add_u32_e32 v11, 1, v9
	v_cmp_le_u32_e32 vcc, s8, v10
	v_cndmask_b32_e32 v10, v9, v11, vcc
	v_mov_b32_e32 v11, v8
	s_or_b64 exec, exec, s[0:1]
	s_andn2_b64 vcc, exec, s[24:25]
	v_pk_mov_b32 v[12:13], 0, 0
	s_cbranch_vccnz .LBB28_34
.LBB28_40:                              ;   in Loop: Header=BB28_35 Depth=1
	v_mov_b32_e32 v9, s27
	v_add_co_u32_e32 v12, vcc, s26, v2
	v_addc_co_u32_e32 v13, vcc, v9, v3, vcc
	v_mul_lo_u32 v9, v0, v11
	v_mul_lo_u32 v14, v1, v10
	v_mad_u64_u32 v[12:13], s[0:1], v0, v10, v[12:13]
	v_add3_u32 v13, v14, v13, v9
	v_or_b32_e32 v9, s23, v13
	v_cmp_ne_u64_e32 vcc, 0, v[8:9]
                                        ; implicit-def: $vgpr14_vgpr15
	s_and_saveexec_b64 s[0:1], vcc
	s_xor_b64 s[14:15], exec, s[0:1]
	s_cbranch_execz .LBB28_42
; %bb.41:                               ;   in Loop: Header=BB28_35 Depth=1
	s_ashr_i32 s0, s23, 31
	s_add_u32 s2, s22, s0
	s_mov_b32 s1, s0
	s_addc_u32 s3, s23, s0
	s_xor_b64 s[18:19], s[2:3], s[0:1]
	v_cvt_f32_u32_e32 v9, s18
	v_cvt_f32_u32_e32 v14, s19
	s_sub_u32 s0, 0, s18
	s_subb_u32 s1, 0, s19
	v_mac_f32_e32 v9, 0x4f800000, v14
	v_rcp_f32_e32 v9, v9
	v_mul_f32_e32 v9, 0x5f7ffffc, v9
	v_mul_f32_e32 v14, 0x2f800000, v9
	v_trunc_f32_e32 v14, v14
	v_mac_f32_e32 v9, 0xcf800000, v14
	v_cvt_u32_f32_e32 v14, v14
	v_cvt_u32_f32_e32 v9, v9
	v_mul_lo_u32 v15, s0, v14
	v_mul_hi_u32 v17, s0, v9
	v_mul_lo_u32 v16, s1, v9
	v_add_u32_e32 v15, v17, v15
	v_mul_lo_u32 v18, s0, v9
	v_add_u32_e32 v15, v15, v16
	v_mul_lo_u32 v17, v9, v15
	v_mul_hi_u32 v19, v9, v18
	v_mul_hi_u32 v16, v9, v15
	v_add_co_u32_e32 v17, vcc, v19, v17
	v_addc_co_u32_e32 v16, vcc, 0, v16, vcc
	v_mul_hi_u32 v20, v14, v18
	v_mul_lo_u32 v18, v14, v18
	v_add_co_u32_e32 v17, vcc, v17, v18
	v_mul_hi_u32 v19, v14, v15
	v_addc_co_u32_e32 v16, vcc, v16, v20, vcc
	v_addc_co_u32_e32 v17, vcc, 0, v19, vcc
	v_mul_lo_u32 v15, v14, v15
	v_add_co_u32_e32 v15, vcc, v16, v15
	v_addc_co_u32_e32 v16, vcc, 0, v17, vcc
	v_add_co_u32_e32 v9, vcc, v9, v15
	v_addc_co_u32_e32 v14, vcc, v14, v16, vcc
	v_mul_lo_u32 v15, s0, v14
	v_mul_hi_u32 v16, s0, v9
	v_add_u32_e32 v15, v16, v15
	v_mul_lo_u32 v16, s1, v9
	v_add_u32_e32 v15, v15, v16
	v_mul_lo_u32 v17, s0, v9
	v_mul_hi_u32 v18, v14, v17
	v_mul_lo_u32 v19, v14, v17
	v_mul_lo_u32 v21, v9, v15
	v_mul_hi_u32 v17, v9, v17
	v_mul_hi_u32 v20, v9, v15
	v_add_co_u32_e32 v17, vcc, v17, v21
	v_addc_co_u32_e32 v20, vcc, 0, v20, vcc
	v_add_co_u32_e32 v17, vcc, v17, v19
	v_mul_hi_u32 v16, v14, v15
	v_addc_co_u32_e32 v17, vcc, v20, v18, vcc
	v_addc_co_u32_e32 v16, vcc, 0, v16, vcc
	v_mul_lo_u32 v15, v14, v15
	v_add_co_u32_e32 v15, vcc, v17, v15
	v_addc_co_u32_e32 v16, vcc, 0, v16, vcc
	v_add_co_u32_e32 v9, vcc, v9, v15
	v_addc_co_u32_e32 v14, vcc, v14, v16, vcc
	v_ashrrev_i32_e32 v16, 31, v13
	v_add_co_u32_e32 v12, vcc, v12, v16
	v_addc_co_u32_e32 v13, vcc, v13, v16, vcc
	v_xor_b32_e32 v18, v12, v16
	v_xor_b32_e32 v17, v13, v16
	v_mad_u64_u32 v[12:13], s[0:1], v18, v14, 0
	v_mul_hi_u32 v15, v18, v9
	v_add_co_u32_e32 v19, vcc, v15, v12
	v_addc_co_u32_e32 v20, vcc, 0, v13, vcc
	v_mad_u64_u32 v[12:13], s[0:1], v17, v14, 0
	v_mad_u64_u32 v[14:15], s[0:1], v17, v9, 0
	v_add_co_u32_e32 v9, vcc, v19, v14
	v_addc_co_u32_e32 v9, vcc, v20, v15, vcc
	v_addc_co_u32_e32 v13, vcc, 0, v13, vcc
	v_add_co_u32_e32 v9, vcc, v9, v12
	v_addc_co_u32_e32 v12, vcc, 0, v13, vcc
	v_mul_lo_u32 v14, s19, v9
	v_mul_lo_u32 v15, s18, v12
	v_mad_u64_u32 v[12:13], s[0:1], s18, v9, 0
	v_add3_u32 v9, v13, v15, v14
	v_sub_u32_e32 v13, v17, v9
	v_mov_b32_e32 v14, s19
	v_sub_co_u32_e32 v12, vcc, v18, v12
	v_subb_co_u32_e64 v13, s[0:1], v13, v14, vcc
	v_subrev_co_u32_e64 v15, s[0:1], s18, v12
	v_subbrev_co_u32_e64 v18, s[2:3], 0, v13, s[0:1]
	v_cmp_le_u32_e64 s[2:3], s19, v18
	v_cndmask_b32_e64 v19, 0, -1, s[2:3]
	v_cmp_le_u32_e64 s[2:3], s18, v15
	v_subb_co_u32_e64 v13, s[0:1], v13, v14, s[0:1]
	v_cndmask_b32_e64 v20, 0, -1, s[2:3]
	v_cmp_eq_u32_e64 s[2:3], s19, v18
	v_subrev_co_u32_e64 v14, s[0:1], s18, v15
	v_subb_co_u32_e32 v9, vcc, v17, v9, vcc
	v_cndmask_b32_e64 v19, v19, v20, s[2:3]
	v_subbrev_co_u32_e64 v13, s[0:1], 0, v13, s[0:1]
	v_cmp_le_u32_e32 vcc, s19, v9
	v_cmp_ne_u32_e64 s[0:1], 0, v19
	v_cndmask_b32_e64 v17, 0, -1, vcc
	v_cmp_le_u32_e32 vcc, s18, v12
	v_cndmask_b32_e64 v13, v18, v13, s[0:1]
	v_cndmask_b32_e64 v18, 0, -1, vcc
	v_cmp_eq_u32_e32 vcc, s19, v9
	v_cndmask_b32_e32 v17, v17, v18, vcc
	v_cmp_ne_u32_e32 vcc, 0, v17
	v_cndmask_b32_e32 v9, v9, v13, vcc
	v_cndmask_b32_e64 v13, v15, v14, s[0:1]
	v_cndmask_b32_e32 v12, v12, v13, vcc
	v_xor_b32_e32 v12, v12, v16
	v_xor_b32_e32 v9, v9, v16
	v_sub_co_u32_e32 v14, vcc, v12, v16
	v_subb_co_u32_e32 v15, vcc, v9, v16, vcc
                                        ; implicit-def: $vgpr12_vgpr13
.LBB28_42:                              ;   in Loop: Header=BB28_35 Depth=1
	s_andn2_saveexec_b64 s[0:1], s[14:15]
	s_cbranch_execz .LBB28_33
; %bb.43:                               ;   in Loop: Header=BB28_35 Depth=1
	v_cvt_f32_u32_e32 v9, s22
	s_sub_i32 s2, 0, s22
	v_mov_b32_e32 v15, v8
	v_rcp_iflag_f32_e32 v9, v9
	v_mul_f32_e32 v9, 0x4f7ffffe, v9
	v_cvt_u32_f32_e32 v9, v9
	v_mul_lo_u32 v13, s2, v9
	v_mul_hi_u32 v13, v9, v13
	v_add_u32_e32 v9, v9, v13
	v_mul_hi_u32 v9, v12, v9
	v_mul_lo_u32 v9, v9, s22
	v_sub_u32_e32 v9, v12, v9
	v_subrev_u32_e32 v12, s22, v9
	v_cmp_le_u32_e32 vcc, s22, v9
	v_cndmask_b32_e32 v9, v9, v12, vcc
	v_subrev_u32_e32 v12, s22, v9
	v_cmp_le_u32_e32 vcc, s22, v9
	v_cndmask_b32_e32 v14, v9, v12, vcc
	s_branch .LBB28_33
.LBB28_44:
	s_endpgm
	.section	.rodata,"a",@progbits
	.p2align	6, 0x0
	.amdhsa_kernel _ZN2at6native12_GLOBAL__N_121reflection_pad1d_flatIiEEvPKT_PS3_lllll
		.amdhsa_group_segment_fixed_size 0
		.amdhsa_private_segment_fixed_size 0
		.amdhsa_kernarg_size 312
		.amdhsa_user_sgpr_count 6
		.amdhsa_user_sgpr_private_segment_buffer 1
		.amdhsa_user_sgpr_dispatch_ptr 0
		.amdhsa_user_sgpr_queue_ptr 0
		.amdhsa_user_sgpr_kernarg_segment_ptr 1
		.amdhsa_user_sgpr_dispatch_id 0
		.amdhsa_user_sgpr_flat_scratch_init 0
		.amdhsa_user_sgpr_kernarg_preload_length 0
		.amdhsa_user_sgpr_kernarg_preload_offset 0
		.amdhsa_user_sgpr_private_segment_size 0
		.amdhsa_uses_dynamic_stack 0
		.amdhsa_system_sgpr_private_segment_wavefront_offset 0
		.amdhsa_system_sgpr_workgroup_id_x 1
		.amdhsa_system_sgpr_workgroup_id_y 0
		.amdhsa_system_sgpr_workgroup_id_z 0
		.amdhsa_system_sgpr_workgroup_info 0
		.amdhsa_system_vgpr_workitem_id 0
		.amdhsa_next_free_vgpr 34
		.amdhsa_next_free_sgpr 57
		.amdhsa_accum_offset 36
		.amdhsa_reserve_vcc 1
		.amdhsa_reserve_flat_scratch 0
		.amdhsa_float_round_mode_32 0
		.amdhsa_float_round_mode_16_64 0
		.amdhsa_float_denorm_mode_32 3
		.amdhsa_float_denorm_mode_16_64 3
		.amdhsa_dx10_clamp 1
		.amdhsa_ieee_mode 1
		.amdhsa_fp16_overflow 0
		.amdhsa_tg_split 0
		.amdhsa_exception_fp_ieee_invalid_op 0
		.amdhsa_exception_fp_denorm_src 0
		.amdhsa_exception_fp_ieee_div_zero 0
		.amdhsa_exception_fp_ieee_overflow 0
		.amdhsa_exception_fp_ieee_underflow 0
		.amdhsa_exception_fp_ieee_inexact 0
		.amdhsa_exception_int_div_zero 0
	.end_amdhsa_kernel
	.section	.text._ZN2at6native12_GLOBAL__N_121reflection_pad1d_flatIiEEvPKT_PS3_lllll,"axG",@progbits,_ZN2at6native12_GLOBAL__N_121reflection_pad1d_flatIiEEvPKT_PS3_lllll,comdat
.Lfunc_end28:
	.size	_ZN2at6native12_GLOBAL__N_121reflection_pad1d_flatIiEEvPKT_PS3_lllll, .Lfunc_end28-_ZN2at6native12_GLOBAL__N_121reflection_pad1d_flatIiEEvPKT_PS3_lllll
                                        ; -- End function
	.section	.AMDGPU.csdata,"",@progbits
; Kernel info:
; codeLenInByte = 6840
; NumSgprs: 61
; NumVgprs: 34
; NumAgprs: 0
; TotalNumVgprs: 34
; ScratchSize: 0
; MemoryBound: 0
; FloatMode: 240
; IeeeMode: 1
; LDSByteSize: 0 bytes/workgroup (compile time only)
; SGPRBlocks: 7
; VGPRBlocks: 4
; NumSGPRsForWavesPerEU: 61
; NumVGPRsForWavesPerEU: 34
; AccumOffset: 36
; Occupancy: 8
; WaveLimiterHint : 0
; COMPUTE_PGM_RSRC2:SCRATCH_EN: 0
; COMPUTE_PGM_RSRC2:USER_SGPR: 6
; COMPUTE_PGM_RSRC2:TRAP_HANDLER: 0
; COMPUTE_PGM_RSRC2:TGID_X_EN: 1
; COMPUTE_PGM_RSRC2:TGID_Y_EN: 0
; COMPUTE_PGM_RSRC2:TGID_Z_EN: 0
; COMPUTE_PGM_RSRC2:TIDIG_COMP_CNT: 0
; COMPUTE_PGM_RSRC3_GFX90A:ACCUM_OFFSET: 8
; COMPUTE_PGM_RSRC3_GFX90A:TG_SPLIT: 0
	.section	.text._ZN2at6native12_GLOBAL__N_127reflection_pad1d_out_kernelIlEEvPKT_PS3_lll,"axG",@progbits,_ZN2at6native12_GLOBAL__N_127reflection_pad1d_out_kernelIlEEvPKT_PS3_lll,comdat
	.globl	_ZN2at6native12_GLOBAL__N_127reflection_pad1d_out_kernelIlEEvPKT_PS3_lll ; -- Begin function _ZN2at6native12_GLOBAL__N_127reflection_pad1d_out_kernelIlEEvPKT_PS3_lll
	.p2align	8
	.type	_ZN2at6native12_GLOBAL__N_127reflection_pad1d_out_kernelIlEEvPKT_PS3_lll,@function
_ZN2at6native12_GLOBAL__N_127reflection_pad1d_out_kernelIlEEvPKT_PS3_lll: ; @_ZN2at6native12_GLOBAL__N_127reflection_pad1d_out_kernelIlEEvPKT_PS3_lll
; %bb.0:
	s_load_dword s9, s[4:5], 0x34
	s_load_dwordx2 s[0:1], s[4:5], 0x20
	s_load_dwordx8 s[12:19], s[4:5], 0x0
	s_add_u32 s2, s4, 40
	s_addc_u32 s3, s5, 0
	s_waitcnt lgkmcnt(0)
	s_and_b32 s4, s9, 0xffff
	v_mov_b32_e32 v1, 0
	v_mov_b32_e32 v2, s6
	v_mad_u64_u32 v[0:1], s[4:5], s4, v2, v[0:1]
	s_add_u32 s4, s18, s16
	s_addc_u32 s5, s19, s17
	s_add_u32 s0, s4, s0
	s_addc_u32 s1, s5, s1
	v_cmp_gt_i64_e32 vcc, s[0:1], v[0:1]
	s_and_saveexec_b64 s[10:11], vcc
	s_cbranch_execz .LBB29_2
; %bb.1:
	s_load_dword s6, s[2:3], 0x4
	s_sub_u32 s2, 0, s18
	v_mov_b32_e32 v2, s19
	v_subrev_co_u32_e32 v3, vcc, s18, v0
	s_waitcnt lgkmcnt(0)
	s_mul_i32 s6, s6, s8
	s_subb_u32 s3, 0, s19
	s_add_i32 s10, s6, s7
	v_subb_co_u32_e32 v2, vcc, v1, v2, vcc
	s_mul_i32 s7, s10, s17
	s_mul_hi_u32 s8, s10, s16
	v_ashrrev_i32_e32 v4, 31, v2
	s_add_i32 s7, s8, s7
	s_mul_i32 s1, s1, s10
	s_mul_hi_u32 s8, s0, s10
	v_xor_b32_e32 v5, v2, v4
	v_xor_b32_e32 v2, v3, v4
	s_add_i32 s1, s8, s1
	v_cmp_gt_i64_e64 s[8:9], s[2:3], 0
	v_sub_co_u32_e32 v2, vcc, v2, v4
	s_and_b64 s[8:9], s[8:9], exec
	v_subb_co_u32_e32 v3, vcc, v5, v4, vcc
	s_cselect_b32 s8, s3, 0
	s_cselect_b32 s9, s2, 0
	v_cmp_gt_i64_e64 s[2:3], s[18:19], 0
	v_mov_b32_e32 v4, s5
	v_subrev_co_u32_e32 v5, vcc, s4, v0
	s_and_b64 s[2:3], s[2:3], exec
	v_subb_co_u32_e32 v4, vcc, v1, v4, vcc
	s_cselect_b32 s3, s19, 0
	s_cselect_b32 s2, s18, 0
	v_add_co_u32_e32 v5, vcc, 1, v5
	v_addc_co_u32_e32 v4, vcc, 0, v4, vcc
	s_not_b64 s[2:3], s[2:3]
	v_ashrrev_i32_e32 v6, 31, v4
	s_add_u32 s4, s4, s18
	v_xor_b32_e32 v5, v5, v6
	s_addc_u32 s5, s5, s19
	v_xor_b32_e32 v4, v4, v6
	v_sub_co_u32_e32 v5, vcc, v5, v6
	s_add_u32 s2, s4, s2
	v_subb_co_u32_e32 v4, vcc, v4, v6, vcc
	s_addc_u32 s3, s5, s3
	s_add_u32 s2, s2, s9
	v_add_co_u32_e32 v5, vcc, v0, v5
	s_addc_u32 s3, s3, s8
	v_addc_co_u32_e32 v6, vcc, v1, v4, vcc
	v_mov_b32_e32 v7, s3
	v_sub_co_u32_e32 v4, vcc, s2, v5
	v_subb_co_u32_e32 v5, vcc, v7, v6, vcc
	v_lshlrev_b64 v[4:5], 3, v[4:5]
	v_mov_b32_e32 v6, s13
	v_add_co_u32_e32 v4, vcc, s12, v4
	v_addc_co_u32_e32 v5, vcc, v6, v5, vcc
	v_lshlrev_b64 v[2:3], 3, v[2:3]
	s_mul_i32 s6, s10, s16
	v_add_co_u32_e32 v2, vcc, v4, v2
	v_addc_co_u32_e32 v3, vcc, v5, v3, vcc
	s_lshl_b64 s[2:3], s[6:7], 3
	v_mov_b32_e32 v4, s3
	v_add_co_u32_e32 v2, vcc, s2, v2
	v_addc_co_u32_e32 v3, vcc, v3, v4, vcc
	global_load_dwordx2 v[2:3], v[2:3], off
	s_mul_i32 s0, s0, s10
	s_lshl_b64 s[0:1], s[0:1], 3
	s_add_u32 s0, s14, s0
	s_addc_u32 s1, s15, s1
	v_lshlrev_b64 v[0:1], 3, v[0:1]
	v_mov_b32_e32 v4, s1
	v_add_co_u32_e32 v0, vcc, s0, v0
	v_addc_co_u32_e32 v1, vcc, v4, v1, vcc
	s_waitcnt vmcnt(0)
	global_store_dwordx2 v[0:1], v[2:3], off
.LBB29_2:
	s_endpgm
	.section	.rodata,"a",@progbits
	.p2align	6, 0x0
	.amdhsa_kernel _ZN2at6native12_GLOBAL__N_127reflection_pad1d_out_kernelIlEEvPKT_PS3_lll
		.amdhsa_group_segment_fixed_size 0
		.amdhsa_private_segment_fixed_size 0
		.amdhsa_kernarg_size 296
		.amdhsa_user_sgpr_count 6
		.amdhsa_user_sgpr_private_segment_buffer 1
		.amdhsa_user_sgpr_dispatch_ptr 0
		.amdhsa_user_sgpr_queue_ptr 0
		.amdhsa_user_sgpr_kernarg_segment_ptr 1
		.amdhsa_user_sgpr_dispatch_id 0
		.amdhsa_user_sgpr_flat_scratch_init 0
		.amdhsa_user_sgpr_kernarg_preload_length 0
		.amdhsa_user_sgpr_kernarg_preload_offset 0
		.amdhsa_user_sgpr_private_segment_size 0
		.amdhsa_uses_dynamic_stack 0
		.amdhsa_system_sgpr_private_segment_wavefront_offset 0
		.amdhsa_system_sgpr_workgroup_id_x 1
		.amdhsa_system_sgpr_workgroup_id_y 1
		.amdhsa_system_sgpr_workgroup_id_z 1
		.amdhsa_system_sgpr_workgroup_info 0
		.amdhsa_system_vgpr_workitem_id 0
		.amdhsa_next_free_vgpr 8
		.amdhsa_next_free_sgpr 20
		.amdhsa_accum_offset 8
		.amdhsa_reserve_vcc 1
		.amdhsa_reserve_flat_scratch 0
		.amdhsa_float_round_mode_32 0
		.amdhsa_float_round_mode_16_64 0
		.amdhsa_float_denorm_mode_32 3
		.amdhsa_float_denorm_mode_16_64 3
		.amdhsa_dx10_clamp 1
		.amdhsa_ieee_mode 1
		.amdhsa_fp16_overflow 0
		.amdhsa_tg_split 0
		.amdhsa_exception_fp_ieee_invalid_op 0
		.amdhsa_exception_fp_denorm_src 0
		.amdhsa_exception_fp_ieee_div_zero 0
		.amdhsa_exception_fp_ieee_overflow 0
		.amdhsa_exception_fp_ieee_underflow 0
		.amdhsa_exception_fp_ieee_inexact 0
		.amdhsa_exception_int_div_zero 0
	.end_amdhsa_kernel
	.section	.text._ZN2at6native12_GLOBAL__N_127reflection_pad1d_out_kernelIlEEvPKT_PS3_lll,"axG",@progbits,_ZN2at6native12_GLOBAL__N_127reflection_pad1d_out_kernelIlEEvPKT_PS3_lll,comdat
.Lfunc_end29:
	.size	_ZN2at6native12_GLOBAL__N_127reflection_pad1d_out_kernelIlEEvPKT_PS3_lll, .Lfunc_end29-_ZN2at6native12_GLOBAL__N_127reflection_pad1d_out_kernelIlEEvPKT_PS3_lll
                                        ; -- End function
	.section	.AMDGPU.csdata,"",@progbits
; Kernel info:
; codeLenInByte = 416
; NumSgprs: 24
; NumVgprs: 8
; NumAgprs: 0
; TotalNumVgprs: 8
; ScratchSize: 0
; MemoryBound: 0
; FloatMode: 240
; IeeeMode: 1
; LDSByteSize: 0 bytes/workgroup (compile time only)
; SGPRBlocks: 2
; VGPRBlocks: 0
; NumSGPRsForWavesPerEU: 24
; NumVGPRsForWavesPerEU: 8
; AccumOffset: 8
; Occupancy: 8
; WaveLimiterHint : 0
; COMPUTE_PGM_RSRC2:SCRATCH_EN: 0
; COMPUTE_PGM_RSRC2:USER_SGPR: 6
; COMPUTE_PGM_RSRC2:TRAP_HANDLER: 0
; COMPUTE_PGM_RSRC2:TGID_X_EN: 1
; COMPUTE_PGM_RSRC2:TGID_Y_EN: 1
; COMPUTE_PGM_RSRC2:TGID_Z_EN: 1
; COMPUTE_PGM_RSRC2:TIDIG_COMP_CNT: 0
; COMPUTE_PGM_RSRC3_GFX90A:ACCUM_OFFSET: 1
; COMPUTE_PGM_RSRC3_GFX90A:TG_SPLIT: 0
	.section	.text._ZN2at6native12_GLOBAL__N_121reflection_pad1d_flatIlEEvPKT_PS3_lllll,"axG",@progbits,_ZN2at6native12_GLOBAL__N_121reflection_pad1d_flatIlEEvPKT_PS3_lllll,comdat
	.globl	_ZN2at6native12_GLOBAL__N_121reflection_pad1d_flatIlEEvPKT_PS3_lllll ; -- Begin function _ZN2at6native12_GLOBAL__N_121reflection_pad1d_flatIlEEvPKT_PS3_lllll
	.p2align	8
	.type	_ZN2at6native12_GLOBAL__N_121reflection_pad1d_flatIlEEvPKT_PS3_lllll,@function
_ZN2at6native12_GLOBAL__N_121reflection_pad1d_flatIlEEvPKT_PS3_lllll: ; @_ZN2at6native12_GLOBAL__N_121reflection_pad1d_flatIlEEvPKT_PS3_lllll
; %bb.0:
	s_load_dword s2, s[4:5], 0x44
	s_load_dwordx4 s[16:19], s[4:5], 0x28
	s_add_u32 s0, s4, 56
	v_mov_b32_e32 v2, 0
	s_addc_u32 s1, s5, 0
	s_waitcnt lgkmcnt(0)
	s_and_b32 s2, s2, 0xffff
	s_mul_i32 s3, s18, s17
	s_mul_hi_u32 s7, s18, s16
	v_mov_b32_e32 v1, v2
	s_add_i32 s3, s7, s3
	s_mul_i32 s7, s19, s16
	v_mov_b32_e32 v3, s6
	s_add_i32 s19, s3, s7
	s_mul_i32 s18, s18, s16
	v_mad_u64_u32 v[0:1], s[6:7], s2, v3, v[0:1]
	v_cmp_gt_i64_e32 vcc, s[18:19], v[0:1]
	s_and_saveexec_b64 s[6:7], vcc
	s_cbranch_execz .LBB30_13
; %bb.1:
	v_cvt_f32_u32_e32 v3, s16
	s_load_dword s3, s[0:1], 0x0
	s_load_dwordx8 s[8:15], s[4:5], 0x0
	v_lshlrev_b64 v[4:5], 3, v[0:1]
	s_mov_b64 s[4:5], 0
	v_rcp_iflag_f32_e32 v3, v3
	s_waitcnt lgkmcnt(0)
	s_mul_hi_u32 s7, s2, s3
	s_lshl_b64 s[0:1], s[12:13], 1
	s_add_u32 s20, s0, -2
	s_addc_u32 s21, s1, -1
	v_mul_f32_e32 v3, 0x4f7ffffe, v3
	s_sub_u32 s28, 0, s16
	v_cvt_u32_f32_e32 v12, v3
	s_subb_u32 s29, 0, s17
	s_mul_i32 s6, s2, s3
	s_sub_u32 s30, 0, s14
	v_mov_b32_e32 v6, s11
	v_add_co_u32_e32 v4, vcc, s10, v4
	v_cmp_gt_i64_e64 s[22:23], s[20:21], 0
	s_subb_u32 s31, 0, s15
	v_addc_co_u32_e32 v5, vcc, v6, v5, vcc
	s_lshl_b64 s[10:11], s[6:7], 3
	s_ashr_i32 s14, s17, 31
	s_branch .LBB30_4
.LBB30_2:                               ;   in Loop: Header=BB30_4 Depth=1
	s_or_b64 exec, exec, s[0:1]
	v_ashrrev_i32_e32 v3, 31, v11
	v_and_b32_e32 v9, s21, v3
	v_and_b32_e32 v3, s20, v3
	v_add_co_u32_e32 v8, vcc, v3, v10
	v_addc_co_u32_e32 v9, vcc, v9, v11, vcc
	v_mov_b32_e32 v3, s21
	v_sub_co_u32_e32 v10, vcc, s20, v8
	v_subb_co_u32_e32 v3, vcc, v3, v9, vcc
	v_cmp_gt_i64_e32 vcc, s[12:13], v[8:9]
	v_cndmask_b32_e32 v9, v3, v9, vcc
	v_cndmask_b32_e32 v8, v10, v8, vcc
.LBB30_3:                               ;   in Loop: Header=BB30_4 Depth=1
	v_mul_lo_u32 v3, v7, s12
	v_mul_lo_u32 v10, v6, s13
	v_mad_u64_u32 v[6:7], s[0:1], v6, s12, 0
	v_add3_u32 v7, v7, v10, v3
	v_lshlrev_b64 v[6:7], 3, v[6:7]
	v_mov_b32_e32 v3, s9
	v_add_co_u32_e32 v10, vcc, s8, v6
	v_addc_co_u32_e32 v3, vcc, v3, v7, vcc
	v_lshlrev_b64 v[6:7], 3, v[8:9]
	v_add_co_u32_e32 v6, vcc, v10, v6
	v_addc_co_u32_e32 v7, vcc, v3, v7, vcc
	global_load_dwordx2 v[6:7], v[6:7], off
	v_mov_b32_e32 v3, s7
	v_add_co_u32_e32 v0, vcc, s6, v0
	v_addc_co_u32_e32 v1, vcc, v1, v3, vcc
	v_cmp_le_i64_e32 vcc, s[18:19], v[0:1]
	v_mov_b32_e32 v8, s11
	s_or_b64 s[4:5], vcc, s[4:5]
	s_waitcnt vmcnt(0)
	global_store_dwordx2 v[4:5], v[6:7], off
	v_add_co_u32_e32 v4, vcc, s10, v4
	v_addc_co_u32_e32 v5, vcc, v5, v8, vcc
	s_andn2_b64 exec, exec, s[4:5]
	s_cbranch_execz .LBB30_13
.LBB30_4:                               ; =>This Inner Loop Header: Depth=1
	v_or_b32_e32 v3, s17, v1
	v_cmp_ne_u64_e32 vcc, 0, v[2:3]
                                        ; implicit-def: $vgpr6_vgpr7
	s_and_saveexec_b64 s[0:1], vcc
	s_xor_b64 s[2:3], exec, s[0:1]
	s_cbranch_execnz .LBB30_7
; %bb.5:                                ;   in Loop: Header=BB30_4 Depth=1
	s_andn2_saveexec_b64 s[0:1], s[2:3]
	s_cbranch_execnz .LBB30_8
.LBB30_6:                               ;   in Loop: Header=BB30_4 Depth=1
	s_or_b64 exec, exec, s[0:1]
	s_andn2_b64 vcc, exec, s[22:23]
	v_pk_mov_b32 v[8:9], 0, 0
	s_cbranch_vccnz .LBB30_3
	s_branch .LBB30_9
.LBB30_7:                               ;   in Loop: Header=BB30_4 Depth=1
	s_add_u32 s0, s16, s14
	s_mov_b32 s15, s14
	s_addc_u32 s1, s17, s14
	s_xor_b64 s[24:25], s[0:1], s[14:15]
	v_cvt_f32_u32_e32 v3, s24
	v_cvt_f32_u32_e32 v6, s25
	s_sub_u32 s0, 0, s24
	s_subb_u32 s1, 0, s25
	v_mac_f32_e32 v3, 0x4f800000, v6
	v_rcp_f32_e32 v3, v3
	v_mul_f32_e32 v3, 0x5f7ffffc, v3
	v_mul_f32_e32 v6, 0x2f800000, v3
	v_trunc_f32_e32 v6, v6
	v_mac_f32_e32 v3, 0xcf800000, v6
	v_cvt_u32_f32_e32 v6, v6
	v_cvt_u32_f32_e32 v3, v3
	v_mul_lo_u32 v7, s0, v6
	v_mul_hi_u32 v9, s0, v3
	v_mul_lo_u32 v8, s1, v3
	v_add_u32_e32 v7, v9, v7
	v_mul_lo_u32 v10, s0, v3
	v_add_u32_e32 v7, v7, v8
	v_mul_lo_u32 v9, v3, v7
	v_mul_hi_u32 v11, v3, v10
	v_mul_hi_u32 v8, v3, v7
	v_add_co_u32_e32 v9, vcc, v11, v9
	v_addc_co_u32_e32 v8, vcc, 0, v8, vcc
	v_mul_hi_u32 v13, v6, v10
	v_mul_lo_u32 v10, v6, v10
	v_add_co_u32_e32 v9, vcc, v9, v10
	v_mul_hi_u32 v11, v6, v7
	v_addc_co_u32_e32 v8, vcc, v8, v13, vcc
	v_addc_co_u32_e32 v9, vcc, 0, v11, vcc
	v_mul_lo_u32 v7, v6, v7
	v_add_co_u32_e32 v7, vcc, v8, v7
	v_addc_co_u32_e32 v8, vcc, 0, v9, vcc
	v_add_co_u32_e32 v3, vcc, v3, v7
	v_addc_co_u32_e32 v6, vcc, v6, v8, vcc
	v_mul_lo_u32 v7, s0, v6
	v_mul_hi_u32 v8, s0, v3
	v_add_u32_e32 v7, v8, v7
	v_mul_lo_u32 v8, s1, v3
	v_add_u32_e32 v7, v7, v8
	v_mul_lo_u32 v9, s0, v3
	v_mul_hi_u32 v10, v6, v9
	v_mul_lo_u32 v11, v6, v9
	v_mul_lo_u32 v14, v3, v7
	v_mul_hi_u32 v9, v3, v9
	v_mul_hi_u32 v13, v3, v7
	v_add_co_u32_e32 v9, vcc, v9, v14
	v_addc_co_u32_e32 v13, vcc, 0, v13, vcc
	v_add_co_u32_e32 v9, vcc, v9, v11
	v_mul_hi_u32 v8, v6, v7
	v_addc_co_u32_e32 v9, vcc, v13, v10, vcc
	v_addc_co_u32_e32 v8, vcc, 0, v8, vcc
	v_mul_lo_u32 v7, v6, v7
	v_add_co_u32_e32 v7, vcc, v9, v7
	v_addc_co_u32_e32 v8, vcc, 0, v8, vcc
	v_add_co_u32_e32 v3, vcc, v3, v7
	v_addc_co_u32_e32 v8, vcc, v6, v8, vcc
	v_ashrrev_i32_e32 v10, 31, v1
	v_add_co_u32_e32 v6, vcc, v0, v10
	v_addc_co_u32_e32 v7, vcc, v1, v10, vcc
	v_xor_b32_e32 v13, v6, v10
	v_xor_b32_e32 v11, v7, v10
	v_mad_u64_u32 v[6:7], s[0:1], v13, v8, 0
	v_mul_hi_u32 v9, v13, v3
	v_add_co_u32_e32 v14, vcc, v9, v6
	v_addc_co_u32_e32 v15, vcc, 0, v7, vcc
	v_mad_u64_u32 v[6:7], s[0:1], v11, v8, 0
	v_mad_u64_u32 v[8:9], s[0:1], v11, v3, 0
	v_add_co_u32_e32 v3, vcc, v14, v8
	v_addc_co_u32_e32 v3, vcc, v15, v9, vcc
	v_addc_co_u32_e32 v7, vcc, 0, v7, vcc
	v_add_co_u32_e32 v3, vcc, v3, v6
	v_addc_co_u32_e32 v8, vcc, 0, v7, vcc
	v_mul_lo_u32 v9, s25, v3
	v_mul_lo_u32 v14, s24, v8
	v_mad_u64_u32 v[6:7], s[0:1], s24, v3, 0
	v_add3_u32 v7, v7, v14, v9
	v_sub_u32_e32 v9, v11, v7
	v_mov_b32_e32 v14, s25
	v_sub_co_u32_e32 v6, vcc, v13, v6
	v_subb_co_u32_e64 v9, s[0:1], v9, v14, vcc
	v_subrev_co_u32_e64 v13, s[0:1], s24, v6
	v_subbrev_co_u32_e64 v9, s[0:1], 0, v9, s[0:1]
	v_cmp_le_u32_e64 s[0:1], s25, v9
	v_cndmask_b32_e64 v14, 0, -1, s[0:1]
	v_cmp_le_u32_e64 s[0:1], s24, v13
	v_cndmask_b32_e64 v13, 0, -1, s[0:1]
	v_cmp_eq_u32_e64 s[0:1], s25, v9
	v_cndmask_b32_e64 v9, v14, v13, s[0:1]
	v_add_co_u32_e64 v13, s[0:1], 2, v3
	v_subb_co_u32_e32 v7, vcc, v11, v7, vcc
	v_addc_co_u32_e64 v14, s[0:1], 0, v8, s[0:1]
	v_cmp_le_u32_e32 vcc, s25, v7
	v_add_co_u32_e64 v15, s[0:1], 1, v3
	v_cndmask_b32_e64 v11, 0, -1, vcc
	v_cmp_le_u32_e32 vcc, s24, v6
	v_addc_co_u32_e64 v16, s[0:1], 0, v8, s[0:1]
	v_cndmask_b32_e64 v6, 0, -1, vcc
	v_cmp_eq_u32_e32 vcc, s25, v7
	v_cmp_ne_u32_e64 s[0:1], 0, v9
	v_cndmask_b32_e32 v6, v11, v6, vcc
	v_cmp_ne_u32_e32 vcc, 0, v6
	v_cndmask_b32_e64 v7, v15, v13, s[0:1]
	v_cndmask_b32_e64 v9, v16, v14, s[0:1]
	v_cndmask_b32_e32 v3, v3, v7, vcc
	v_xor_b32_e32 v7, s14, v10
	v_cndmask_b32_e32 v6, v8, v9, vcc
	v_xor_b32_e32 v3, v3, v7
	v_xor_b32_e32 v8, v6, v7
	v_sub_co_u32_e32 v6, vcc, v3, v7
	v_subb_co_u32_e32 v7, vcc, v8, v7, vcc
	s_andn2_saveexec_b64 s[0:1], s[2:3]
	s_cbranch_execz .LBB30_6
.LBB30_8:                               ;   in Loop: Header=BB30_4 Depth=1
	s_sub_i32 s2, 0, s16
	v_mul_lo_u32 v3, s2, v12
	v_mul_hi_u32 v3, v12, v3
	v_add_u32_e32 v3, v12, v3
	v_mul_hi_u32 v3, v0, v3
	v_mul_lo_u32 v6, v3, s16
	v_sub_u32_e32 v6, v0, v6
	v_subrev_u32_e32 v7, s16, v6
	v_cmp_le_u32_e32 vcc, s16, v6
	v_cndmask_b32_e32 v6, v6, v7, vcc
	v_add_u32_e32 v7, 1, v3
	v_cndmask_b32_e32 v3, v3, v7, vcc
	v_add_u32_e32 v7, 1, v3
	v_cmp_le_u32_e32 vcc, s16, v6
	v_cndmask_b32_e32 v6, v3, v7, vcc
	v_mov_b32_e32 v7, v2
	s_or_b64 exec, exec, s[0:1]
	s_andn2_b64 vcc, exec, s[22:23]
	v_pk_mov_b32 v[8:9], 0, 0
	s_cbranch_vccnz .LBB30_3
.LBB30_9:                               ;   in Loop: Header=BB30_4 Depth=1
	v_mov_b32_e32 v3, s31
	v_add_co_u32_e32 v8, vcc, s30, v0
	v_addc_co_u32_e32 v9, vcc, v3, v1, vcc
	v_mul_lo_u32 v3, s28, v7
	v_mul_lo_u32 v10, s29, v6
	v_mad_u64_u32 v[8:9], s[0:1], s28, v6, v[8:9]
	v_add3_u32 v9, v10, v9, v3
	v_or_b32_e32 v3, s21, v9
	v_cmp_ne_u64_e32 vcc, 0, v[2:3]
                                        ; implicit-def: $vgpr10_vgpr11
	s_and_saveexec_b64 s[0:1], vcc
	s_xor_b64 s[24:25], exec, s[0:1]
	s_cbranch_execz .LBB30_11
; %bb.10:                               ;   in Loop: Header=BB30_4 Depth=1
	s_ashr_i32 s0, s21, 31
	s_add_u32 s2, s20, s0
	s_mov_b32 s1, s0
	s_addc_u32 s3, s21, s0
	s_xor_b64 s[26:27], s[2:3], s[0:1]
	v_cvt_f32_u32_e32 v3, s26
	v_cvt_f32_u32_e32 v10, s27
	s_sub_u32 s0, 0, s26
	s_subb_u32 s1, 0, s27
	v_mac_f32_e32 v3, 0x4f800000, v10
	v_rcp_f32_e32 v3, v3
	v_mul_f32_e32 v3, 0x5f7ffffc, v3
	v_mul_f32_e32 v10, 0x2f800000, v3
	v_trunc_f32_e32 v10, v10
	v_mac_f32_e32 v3, 0xcf800000, v10
	v_cvt_u32_f32_e32 v10, v10
	v_cvt_u32_f32_e32 v3, v3
	v_mul_lo_u32 v11, s0, v10
	v_mul_hi_u32 v14, s0, v3
	v_mul_lo_u32 v13, s1, v3
	v_add_u32_e32 v11, v14, v11
	v_mul_lo_u32 v15, s0, v3
	v_add_u32_e32 v11, v11, v13
	v_mul_lo_u32 v14, v3, v11
	v_mul_hi_u32 v16, v3, v15
	v_mul_hi_u32 v13, v3, v11
	v_add_co_u32_e32 v14, vcc, v16, v14
	v_addc_co_u32_e32 v13, vcc, 0, v13, vcc
	v_mul_hi_u32 v17, v10, v15
	v_mul_lo_u32 v15, v10, v15
	v_add_co_u32_e32 v14, vcc, v14, v15
	v_mul_hi_u32 v16, v10, v11
	v_addc_co_u32_e32 v13, vcc, v13, v17, vcc
	v_addc_co_u32_e32 v14, vcc, 0, v16, vcc
	v_mul_lo_u32 v11, v10, v11
	v_add_co_u32_e32 v11, vcc, v13, v11
	v_addc_co_u32_e32 v13, vcc, 0, v14, vcc
	v_add_co_u32_e32 v3, vcc, v3, v11
	v_addc_co_u32_e32 v10, vcc, v10, v13, vcc
	v_mul_lo_u32 v11, s0, v10
	v_mul_hi_u32 v13, s0, v3
	v_add_u32_e32 v11, v13, v11
	v_mul_lo_u32 v13, s1, v3
	v_add_u32_e32 v11, v11, v13
	v_mul_lo_u32 v14, s0, v3
	v_mul_hi_u32 v15, v10, v14
	v_mul_lo_u32 v16, v10, v14
	v_mul_lo_u32 v18, v3, v11
	v_mul_hi_u32 v14, v3, v14
	v_mul_hi_u32 v17, v3, v11
	v_add_co_u32_e32 v14, vcc, v14, v18
	v_addc_co_u32_e32 v17, vcc, 0, v17, vcc
	v_add_co_u32_e32 v14, vcc, v14, v16
	v_mul_hi_u32 v13, v10, v11
	v_addc_co_u32_e32 v14, vcc, v17, v15, vcc
	v_addc_co_u32_e32 v13, vcc, 0, v13, vcc
	v_mul_lo_u32 v11, v10, v11
	v_add_co_u32_e32 v11, vcc, v14, v11
	v_addc_co_u32_e32 v13, vcc, 0, v13, vcc
	v_add_co_u32_e32 v3, vcc, v3, v11
	v_addc_co_u32_e32 v10, vcc, v10, v13, vcc
	v_ashrrev_i32_e32 v13, 31, v9
	v_add_co_u32_e32 v8, vcc, v8, v13
	v_addc_co_u32_e32 v9, vcc, v9, v13, vcc
	v_xor_b32_e32 v15, v8, v13
	v_xor_b32_e32 v14, v9, v13
	v_mad_u64_u32 v[8:9], s[0:1], v15, v10, 0
	v_mul_hi_u32 v11, v15, v3
	v_add_co_u32_e32 v16, vcc, v11, v8
	v_addc_co_u32_e32 v17, vcc, 0, v9, vcc
	v_mad_u64_u32 v[8:9], s[0:1], v14, v10, 0
	v_mad_u64_u32 v[10:11], s[0:1], v14, v3, 0
	v_add_co_u32_e32 v3, vcc, v16, v10
	v_addc_co_u32_e32 v3, vcc, v17, v11, vcc
	v_addc_co_u32_e32 v9, vcc, 0, v9, vcc
	v_add_co_u32_e32 v3, vcc, v3, v8
	v_addc_co_u32_e32 v8, vcc, 0, v9, vcc
	v_mul_lo_u32 v10, s27, v3
	v_mul_lo_u32 v11, s26, v8
	v_mad_u64_u32 v[8:9], s[0:1], s26, v3, 0
	v_add3_u32 v3, v9, v11, v10
	v_sub_u32_e32 v9, v14, v3
	v_mov_b32_e32 v10, s27
	v_sub_co_u32_e32 v8, vcc, v15, v8
	v_subb_co_u32_e64 v9, s[0:1], v9, v10, vcc
	v_subrev_co_u32_e64 v11, s[0:1], s26, v8
	v_subbrev_co_u32_e64 v15, s[2:3], 0, v9, s[0:1]
	v_cmp_le_u32_e64 s[2:3], s27, v15
	v_cndmask_b32_e64 v16, 0, -1, s[2:3]
	v_cmp_le_u32_e64 s[2:3], s26, v11
	v_subb_co_u32_e64 v9, s[0:1], v9, v10, s[0:1]
	v_cndmask_b32_e64 v17, 0, -1, s[2:3]
	v_cmp_eq_u32_e64 s[2:3], s27, v15
	v_subrev_co_u32_e64 v10, s[0:1], s26, v11
	v_subb_co_u32_e32 v3, vcc, v14, v3, vcc
	v_cndmask_b32_e64 v16, v16, v17, s[2:3]
	v_subbrev_co_u32_e64 v9, s[0:1], 0, v9, s[0:1]
	v_cmp_le_u32_e32 vcc, s27, v3
	v_cmp_ne_u32_e64 s[0:1], 0, v16
	v_cndmask_b32_e64 v14, 0, -1, vcc
	v_cmp_le_u32_e32 vcc, s26, v8
	v_cndmask_b32_e64 v9, v15, v9, s[0:1]
	v_cndmask_b32_e64 v15, 0, -1, vcc
	v_cmp_eq_u32_e32 vcc, s27, v3
	v_cndmask_b32_e32 v14, v14, v15, vcc
	v_cmp_ne_u32_e32 vcc, 0, v14
	v_cndmask_b32_e32 v3, v3, v9, vcc
	v_cndmask_b32_e64 v9, v11, v10, s[0:1]
	v_cndmask_b32_e32 v8, v8, v9, vcc
	v_xor_b32_e32 v8, v8, v13
	v_xor_b32_e32 v3, v3, v13
	v_sub_co_u32_e32 v10, vcc, v8, v13
	v_subb_co_u32_e32 v11, vcc, v3, v13, vcc
                                        ; implicit-def: $vgpr8_vgpr9
.LBB30_11:                              ;   in Loop: Header=BB30_4 Depth=1
	s_andn2_saveexec_b64 s[0:1], s[24:25]
	s_cbranch_execz .LBB30_2
; %bb.12:                               ;   in Loop: Header=BB30_4 Depth=1
	v_cvt_f32_u32_e32 v3, s20
	s_sub_i32 s2, 0, s20
	v_mov_b32_e32 v11, v2
	v_rcp_iflag_f32_e32 v3, v3
	v_mul_f32_e32 v3, 0x4f7ffffe, v3
	v_cvt_u32_f32_e32 v3, v3
	v_mul_lo_u32 v9, s2, v3
	v_mul_hi_u32 v9, v3, v9
	v_add_u32_e32 v3, v3, v9
	v_mul_hi_u32 v3, v8, v3
	v_mul_lo_u32 v3, v3, s20
	v_sub_u32_e32 v3, v8, v3
	v_subrev_u32_e32 v8, s20, v3
	v_cmp_le_u32_e32 vcc, s20, v3
	v_cndmask_b32_e32 v3, v3, v8, vcc
	v_subrev_u32_e32 v8, s20, v3
	v_cmp_le_u32_e32 vcc, s20, v3
	v_cndmask_b32_e32 v10, v3, v8, vcc
	s_branch .LBB30_2
.LBB30_13:
	s_endpgm
	.section	.rodata,"a",@progbits
	.p2align	6, 0x0
	.amdhsa_kernel _ZN2at6native12_GLOBAL__N_121reflection_pad1d_flatIlEEvPKT_PS3_lllll
		.amdhsa_group_segment_fixed_size 0
		.amdhsa_private_segment_fixed_size 0
		.amdhsa_kernarg_size 312
		.amdhsa_user_sgpr_count 6
		.amdhsa_user_sgpr_private_segment_buffer 1
		.amdhsa_user_sgpr_dispatch_ptr 0
		.amdhsa_user_sgpr_queue_ptr 0
		.amdhsa_user_sgpr_kernarg_segment_ptr 1
		.amdhsa_user_sgpr_dispatch_id 0
		.amdhsa_user_sgpr_flat_scratch_init 0
		.amdhsa_user_sgpr_kernarg_preload_length 0
		.amdhsa_user_sgpr_kernarg_preload_offset 0
		.amdhsa_user_sgpr_private_segment_size 0
		.amdhsa_uses_dynamic_stack 0
		.amdhsa_system_sgpr_private_segment_wavefront_offset 0
		.amdhsa_system_sgpr_workgroup_id_x 1
		.amdhsa_system_sgpr_workgroup_id_y 0
		.amdhsa_system_sgpr_workgroup_id_z 0
		.amdhsa_system_sgpr_workgroup_info 0
		.amdhsa_system_vgpr_workitem_id 0
		.amdhsa_next_free_vgpr 19
		.amdhsa_next_free_sgpr 32
		.amdhsa_accum_offset 20
		.amdhsa_reserve_vcc 1
		.amdhsa_reserve_flat_scratch 0
		.amdhsa_float_round_mode_32 0
		.amdhsa_float_round_mode_16_64 0
		.amdhsa_float_denorm_mode_32 3
		.amdhsa_float_denorm_mode_16_64 3
		.amdhsa_dx10_clamp 1
		.amdhsa_ieee_mode 1
		.amdhsa_fp16_overflow 0
		.amdhsa_tg_split 0
		.amdhsa_exception_fp_ieee_invalid_op 0
		.amdhsa_exception_fp_denorm_src 0
		.amdhsa_exception_fp_ieee_div_zero 0
		.amdhsa_exception_fp_ieee_overflow 0
		.amdhsa_exception_fp_ieee_underflow 0
		.amdhsa_exception_fp_ieee_inexact 0
		.amdhsa_exception_int_div_zero 0
	.end_amdhsa_kernel
	.section	.text._ZN2at6native12_GLOBAL__N_121reflection_pad1d_flatIlEEvPKT_PS3_lllll,"axG",@progbits,_ZN2at6native12_GLOBAL__N_121reflection_pad1d_flatIlEEvPKT_PS3_lllll,comdat
.Lfunc_end30:
	.size	_ZN2at6native12_GLOBAL__N_121reflection_pad1d_flatIlEEvPKT_PS3_lllll, .Lfunc_end30-_ZN2at6native12_GLOBAL__N_121reflection_pad1d_flatIlEEvPKT_PS3_lllll
                                        ; -- End function
	.section	.AMDGPU.csdata,"",@progbits
; Kernel info:
; codeLenInByte = 2040
; NumSgprs: 36
; NumVgprs: 19
; NumAgprs: 0
; TotalNumVgprs: 19
; ScratchSize: 0
; MemoryBound: 0
; FloatMode: 240
; IeeeMode: 1
; LDSByteSize: 0 bytes/workgroup (compile time only)
; SGPRBlocks: 4
; VGPRBlocks: 2
; NumSGPRsForWavesPerEU: 36
; NumVGPRsForWavesPerEU: 19
; AccumOffset: 20
; Occupancy: 8
; WaveLimiterHint : 0
; COMPUTE_PGM_RSRC2:SCRATCH_EN: 0
; COMPUTE_PGM_RSRC2:USER_SGPR: 6
; COMPUTE_PGM_RSRC2:TRAP_HANDLER: 0
; COMPUTE_PGM_RSRC2:TGID_X_EN: 1
; COMPUTE_PGM_RSRC2:TGID_Y_EN: 0
; COMPUTE_PGM_RSRC2:TGID_Z_EN: 0
; COMPUTE_PGM_RSRC2:TIDIG_COMP_CNT: 0
; COMPUTE_PGM_RSRC3_GFX90A:ACCUM_OFFSET: 4
; COMPUTE_PGM_RSRC3_GFX90A:TG_SPLIT: 0
	.section	.text._ZN2at6native12_GLOBAL__N_127reflection_pad1d_out_kernelIsEEvPKT_PS3_lll,"axG",@progbits,_ZN2at6native12_GLOBAL__N_127reflection_pad1d_out_kernelIsEEvPKT_PS3_lll,comdat
	.globl	_ZN2at6native12_GLOBAL__N_127reflection_pad1d_out_kernelIsEEvPKT_PS3_lll ; -- Begin function _ZN2at6native12_GLOBAL__N_127reflection_pad1d_out_kernelIsEEvPKT_PS3_lll
	.p2align	8
	.type	_ZN2at6native12_GLOBAL__N_127reflection_pad1d_out_kernelIsEEvPKT_PS3_lll,@function
_ZN2at6native12_GLOBAL__N_127reflection_pad1d_out_kernelIsEEvPKT_PS3_lll: ; @_ZN2at6native12_GLOBAL__N_127reflection_pad1d_out_kernelIsEEvPKT_PS3_lll
; %bb.0:
	s_load_dword s9, s[4:5], 0x34
	s_load_dwordx2 s[0:1], s[4:5], 0x20
	s_load_dwordx8 s[12:19], s[4:5], 0x0
	s_add_u32 s2, s4, 40
	s_addc_u32 s3, s5, 0
	s_waitcnt lgkmcnt(0)
	s_and_b32 s4, s9, 0xffff
	v_mov_b32_e32 v1, 0
	v_mov_b32_e32 v2, s6
	v_mad_u64_u32 v[0:1], s[4:5], s4, v2, v[0:1]
	s_add_u32 s4, s18, s16
	s_addc_u32 s5, s19, s17
	s_add_u32 s0, s4, s0
	s_addc_u32 s1, s5, s1
	v_cmp_gt_i64_e32 vcc, s[0:1], v[0:1]
	s_and_saveexec_b64 s[10:11], vcc
	s_cbranch_execz .LBB31_2
; %bb.1:
	s_load_dword s6, s[2:3], 0x4
	s_sub_u32 s2, 0, s18
	v_mov_b32_e32 v2, s19
	v_subrev_co_u32_e32 v3, vcc, s18, v0
	s_waitcnt lgkmcnt(0)
	s_mul_i32 s6, s6, s8
	s_subb_u32 s3, 0, s19
	s_add_i32 s10, s6, s7
	v_subb_co_u32_e32 v2, vcc, v1, v2, vcc
	s_mul_i32 s7, s10, s17
	s_mul_hi_u32 s8, s10, s16
	v_ashrrev_i32_e32 v4, 31, v2
	s_add_i32 s7, s8, s7
	s_mul_i32 s1, s1, s10
	s_mul_hi_u32 s8, s0, s10
	v_xor_b32_e32 v5, v2, v4
	v_xor_b32_e32 v2, v3, v4
	s_add_i32 s1, s8, s1
	v_cmp_gt_i64_e64 s[8:9], s[2:3], 0
	v_sub_co_u32_e32 v2, vcc, v2, v4
	s_and_b64 s[8:9], s[8:9], exec
	v_subb_co_u32_e32 v3, vcc, v5, v4, vcc
	s_cselect_b32 s8, s3, 0
	s_cselect_b32 s9, s2, 0
	v_cmp_gt_i64_e64 s[2:3], s[18:19], 0
	v_mov_b32_e32 v4, s5
	v_subrev_co_u32_e32 v5, vcc, s4, v0
	s_and_b64 s[2:3], s[2:3], exec
	v_subb_co_u32_e32 v4, vcc, v1, v4, vcc
	s_cselect_b32 s3, s19, 0
	s_cselect_b32 s2, s18, 0
	v_add_co_u32_e32 v5, vcc, 1, v5
	v_addc_co_u32_e32 v4, vcc, 0, v4, vcc
	s_not_b64 s[2:3], s[2:3]
	v_ashrrev_i32_e32 v6, 31, v4
	s_add_u32 s4, s4, s18
	v_xor_b32_e32 v5, v5, v6
	s_addc_u32 s5, s5, s19
	v_xor_b32_e32 v4, v4, v6
	v_sub_co_u32_e32 v5, vcc, v5, v6
	s_add_u32 s2, s4, s2
	v_subb_co_u32_e32 v4, vcc, v4, v6, vcc
	s_addc_u32 s3, s5, s3
	s_add_u32 s2, s2, s9
	v_add_co_u32_e32 v5, vcc, v0, v5
	s_addc_u32 s3, s3, s8
	v_addc_co_u32_e32 v6, vcc, v1, v4, vcc
	v_mov_b32_e32 v7, s3
	v_sub_co_u32_e32 v4, vcc, s2, v5
	v_subb_co_u32_e32 v5, vcc, v7, v6, vcc
	v_lshlrev_b64 v[4:5], 1, v[4:5]
	v_mov_b32_e32 v6, s13
	v_add_co_u32_e32 v4, vcc, s12, v4
	v_addc_co_u32_e32 v5, vcc, v6, v5, vcc
	v_lshlrev_b64 v[2:3], 1, v[2:3]
	s_mul_i32 s6, s10, s16
	v_add_co_u32_e32 v2, vcc, v4, v2
	v_addc_co_u32_e32 v3, vcc, v5, v3, vcc
	s_lshl_b64 s[2:3], s[6:7], 1
	v_mov_b32_e32 v4, s3
	v_add_co_u32_e32 v2, vcc, s2, v2
	v_addc_co_u32_e32 v3, vcc, v3, v4, vcc
	global_load_ushort v2, v[2:3], off
	s_mul_i32 s0, s0, s10
	s_lshl_b64 s[0:1], s[0:1], 1
	s_add_u32 s0, s14, s0
	s_addc_u32 s1, s15, s1
	v_lshlrev_b64 v[0:1], 1, v[0:1]
	v_mov_b32_e32 v3, s1
	v_add_co_u32_e32 v0, vcc, s0, v0
	v_addc_co_u32_e32 v1, vcc, v3, v1, vcc
	s_waitcnt vmcnt(0)
	global_store_short v[0:1], v2, off
.LBB31_2:
	s_endpgm
	.section	.rodata,"a",@progbits
	.p2align	6, 0x0
	.amdhsa_kernel _ZN2at6native12_GLOBAL__N_127reflection_pad1d_out_kernelIsEEvPKT_PS3_lll
		.amdhsa_group_segment_fixed_size 0
		.amdhsa_private_segment_fixed_size 0
		.amdhsa_kernarg_size 296
		.amdhsa_user_sgpr_count 6
		.amdhsa_user_sgpr_private_segment_buffer 1
		.amdhsa_user_sgpr_dispatch_ptr 0
		.amdhsa_user_sgpr_queue_ptr 0
		.amdhsa_user_sgpr_kernarg_segment_ptr 1
		.amdhsa_user_sgpr_dispatch_id 0
		.amdhsa_user_sgpr_flat_scratch_init 0
		.amdhsa_user_sgpr_kernarg_preload_length 0
		.amdhsa_user_sgpr_kernarg_preload_offset 0
		.amdhsa_user_sgpr_private_segment_size 0
		.amdhsa_uses_dynamic_stack 0
		.amdhsa_system_sgpr_private_segment_wavefront_offset 0
		.amdhsa_system_sgpr_workgroup_id_x 1
		.amdhsa_system_sgpr_workgroup_id_y 1
		.amdhsa_system_sgpr_workgroup_id_z 1
		.amdhsa_system_sgpr_workgroup_info 0
		.amdhsa_system_vgpr_workitem_id 0
		.amdhsa_next_free_vgpr 8
		.amdhsa_next_free_sgpr 20
		.amdhsa_accum_offset 8
		.amdhsa_reserve_vcc 1
		.amdhsa_reserve_flat_scratch 0
		.amdhsa_float_round_mode_32 0
		.amdhsa_float_round_mode_16_64 0
		.amdhsa_float_denorm_mode_32 3
		.amdhsa_float_denorm_mode_16_64 3
		.amdhsa_dx10_clamp 1
		.amdhsa_ieee_mode 1
		.amdhsa_fp16_overflow 0
		.amdhsa_tg_split 0
		.amdhsa_exception_fp_ieee_invalid_op 0
		.amdhsa_exception_fp_denorm_src 0
		.amdhsa_exception_fp_ieee_div_zero 0
		.amdhsa_exception_fp_ieee_overflow 0
		.amdhsa_exception_fp_ieee_underflow 0
		.amdhsa_exception_fp_ieee_inexact 0
		.amdhsa_exception_int_div_zero 0
	.end_amdhsa_kernel
	.section	.text._ZN2at6native12_GLOBAL__N_127reflection_pad1d_out_kernelIsEEvPKT_PS3_lll,"axG",@progbits,_ZN2at6native12_GLOBAL__N_127reflection_pad1d_out_kernelIsEEvPKT_PS3_lll,comdat
.Lfunc_end31:
	.size	_ZN2at6native12_GLOBAL__N_127reflection_pad1d_out_kernelIsEEvPKT_PS3_lll, .Lfunc_end31-_ZN2at6native12_GLOBAL__N_127reflection_pad1d_out_kernelIsEEvPKT_PS3_lll
                                        ; -- End function
	.section	.AMDGPU.csdata,"",@progbits
; Kernel info:
; codeLenInByte = 416
; NumSgprs: 24
; NumVgprs: 8
; NumAgprs: 0
; TotalNumVgprs: 8
; ScratchSize: 0
; MemoryBound: 0
; FloatMode: 240
; IeeeMode: 1
; LDSByteSize: 0 bytes/workgroup (compile time only)
; SGPRBlocks: 2
; VGPRBlocks: 0
; NumSGPRsForWavesPerEU: 24
; NumVGPRsForWavesPerEU: 8
; AccumOffset: 8
; Occupancy: 8
; WaveLimiterHint : 0
; COMPUTE_PGM_RSRC2:SCRATCH_EN: 0
; COMPUTE_PGM_RSRC2:USER_SGPR: 6
; COMPUTE_PGM_RSRC2:TRAP_HANDLER: 0
; COMPUTE_PGM_RSRC2:TGID_X_EN: 1
; COMPUTE_PGM_RSRC2:TGID_Y_EN: 1
; COMPUTE_PGM_RSRC2:TGID_Z_EN: 1
; COMPUTE_PGM_RSRC2:TIDIG_COMP_CNT: 0
; COMPUTE_PGM_RSRC3_GFX90A:ACCUM_OFFSET: 1
; COMPUTE_PGM_RSRC3_GFX90A:TG_SPLIT: 0
	.section	.text._ZN2at6native12_GLOBAL__N_121reflection_pad1d_flatIsEEvPKT_PS3_lllll,"axG",@progbits,_ZN2at6native12_GLOBAL__N_121reflection_pad1d_flatIsEEvPKT_PS3_lllll,comdat
	.globl	_ZN2at6native12_GLOBAL__N_121reflection_pad1d_flatIsEEvPKT_PS3_lllll ; -- Begin function _ZN2at6native12_GLOBAL__N_121reflection_pad1d_flatIsEEvPKT_PS3_lllll
	.p2align	8
	.type	_ZN2at6native12_GLOBAL__N_121reflection_pad1d_flatIsEEvPKT_PS3_lllll,@function
_ZN2at6native12_GLOBAL__N_121reflection_pad1d_flatIsEEvPKT_PS3_lllll: ; @_ZN2at6native12_GLOBAL__N_121reflection_pad1d_flatIsEEvPKT_PS3_lllll
; %bb.0:
	s_load_dword s2, s[4:5], 0x44
	s_load_dwordx4 s[8:11], s[4:5], 0x28
	s_add_u32 s0, s4, 56
	s_addc_u32 s1, s5, 0
	v_mov_b32_e32 v1, 0
	s_waitcnt lgkmcnt(0)
	s_and_b32 s7, s2, 0xffff
	s_mul_i32 s2, s10, s9
	s_mul_hi_u32 s12, s10, s8
	s_add_i32 s2, s12, s2
	s_mul_i32 s11, s11, s8
	v_mov_b32_e32 v2, s6
	s_add_i32 s11, s2, s11
	s_mul_i32 s10, s10, s8
	v_mad_u64_u32 v[2:3], s[12:13], s7, v2, v[0:1]
	s_mov_b32 s3, 0
	v_cmp_gt_i64_e32 vcc, s[10:11], v[2:3]
	s_and_saveexec_b64 s[12:13], vcc
	s_cbranch_execz .LBB32_64
; %bb.1:
	s_load_dword s2, s[0:1], 0x0
	v_mov_b32_e32 v4, s7
	s_waitcnt lgkmcnt(0)
	s_add_u32 s0, s6, s2
	s_addc_u32 s1, 0, 0
	s_mul_i32 s12, s1, s7
	v_mad_u64_u32 v[10:11], s[0:1], s0, v4, v[0:1]
	v_add_u32_e32 v11, s12, v11
	v_mov_b32_e32 v4, s11
	v_cmp_gt_i64_e32 vcc, s[10:11], v[10:11]
	v_cndmask_b32_e32 v6, v11, v4, vcc
	v_mov_b32_e32 v4, s10
	v_cndmask_b32_e32 v5, v10, v4, vcc
	v_cndmask_b32_e64 v4, 0, 1, vcc
	v_add_co_u32_e32 v7, vcc, v10, v4
	v_addc_co_u32_e32 v8, vcc, 0, v11, vcc
	v_sub_co_u32_e32 v5, vcc, v5, v7
	s_mul_hi_u32 s21, s7, s2
	v_subb_co_u32_e32 v8, vcc, v6, v8, vcc
	v_or_b32_e32 v7, s21, v8
	v_mov_b32_e32 v6, v1
	s_mul_i32 s20, s7, s2
	v_cmp_ne_u64_e32 vcc, 0, v[6:7]
                                        ; implicit-def: $vgpr6_vgpr7
	s_and_saveexec_b64 s[0:1], vcc
	s_xor_b64 s[12:13], exec, s[0:1]
	s_cbranch_execz .LBB32_3
; %bb.2:
	v_cvt_f32_u32_e32 v6, s20
	v_cvt_f32_u32_e32 v7, s21
	s_sub_u32 s0, 0, s20
	s_subb_u32 s1, 0, s21
	v_madmk_f32 v6, v7, 0x4f800000, v6
	v_rcp_f32_e32 v6, v6
	v_mul_f32_e32 v6, 0x5f7ffffc, v6
	v_mul_f32_e32 v7, 0x2f800000, v6
	v_trunc_f32_e32 v7, v7
	v_madmk_f32 v6, v7, 0xcf800000, v6
	v_cvt_u32_f32_e32 v7, v7
	v_cvt_u32_f32_e32 v6, v6
	v_mul_lo_u32 v9, s0, v7
	v_mul_hi_u32 v13, s0, v6
	v_mul_lo_u32 v12, s1, v6
	v_add_u32_e32 v9, v13, v9
	v_mul_lo_u32 v14, s0, v6
	v_add_u32_e32 v9, v9, v12
	v_mul_hi_u32 v13, v6, v14
	v_mul_lo_u32 v15, v6, v9
	v_mul_hi_u32 v12, v6, v9
	v_add_co_u32_e32 v13, vcc, v13, v15
	v_addc_co_u32_e32 v12, vcc, 0, v12, vcc
	v_mul_hi_u32 v16, v7, v14
	v_mul_lo_u32 v14, v7, v14
	v_add_co_u32_e32 v13, vcc, v13, v14
	v_mul_hi_u32 v15, v7, v9
	v_addc_co_u32_e32 v12, vcc, v12, v16, vcc
	v_addc_co_u32_e32 v13, vcc, 0, v15, vcc
	v_mul_lo_u32 v9, v7, v9
	v_add_co_u32_e32 v9, vcc, v12, v9
	v_addc_co_u32_e32 v12, vcc, 0, v13, vcc
	v_add_co_u32_e32 v6, vcc, v6, v9
	v_addc_co_u32_e32 v7, vcc, v7, v12, vcc
	v_mul_lo_u32 v9, s0, v7
	v_mul_hi_u32 v12, s0, v6
	v_add_u32_e32 v9, v12, v9
	v_mul_lo_u32 v12, s1, v6
	v_add_u32_e32 v9, v9, v12
	v_mul_lo_u32 v13, s0, v6
	v_mul_hi_u32 v14, v7, v13
	v_mul_lo_u32 v15, v7, v13
	v_mul_lo_u32 v17, v6, v9
	v_mul_hi_u32 v13, v6, v13
	v_mul_hi_u32 v16, v6, v9
	v_add_co_u32_e32 v13, vcc, v13, v17
	v_addc_co_u32_e32 v16, vcc, 0, v16, vcc
	v_add_co_u32_e32 v13, vcc, v13, v15
	v_mul_hi_u32 v12, v7, v9
	v_addc_co_u32_e32 v13, vcc, v16, v14, vcc
	v_addc_co_u32_e32 v12, vcc, 0, v12, vcc
	v_mul_lo_u32 v9, v7, v9
	v_add_co_u32_e32 v9, vcc, v13, v9
	v_addc_co_u32_e32 v12, vcc, 0, v12, vcc
	v_add_co_u32_e32 v9, vcc, v6, v9
	v_addc_co_u32_e32 v12, vcc, v7, v12, vcc
	v_mad_u64_u32 v[6:7], s[0:1], v5, v12, 0
	v_mul_hi_u32 v13, v5, v9
	v_add_co_u32_e32 v14, vcc, v13, v6
	v_addc_co_u32_e32 v15, vcc, 0, v7, vcc
	v_mad_u64_u32 v[6:7], s[0:1], v8, v12, 0
	v_mad_u64_u32 v[12:13], s[0:1], v8, v9, 0
	v_add_co_u32_e32 v9, vcc, v14, v12
	v_addc_co_u32_e32 v9, vcc, v15, v13, vcc
	v_addc_co_u32_e32 v7, vcc, 0, v7, vcc
	v_add_co_u32_e32 v9, vcc, v9, v6
	v_addc_co_u32_e32 v12, vcc, 0, v7, vcc
	v_mul_lo_u32 v13, s21, v9
	v_mul_lo_u32 v14, s20, v12
	v_mad_u64_u32 v[6:7], s[0:1], s20, v9, 0
	v_add3_u32 v7, v7, v14, v13
	v_sub_u32_e32 v13, v8, v7
	v_mov_b32_e32 v14, s21
	v_sub_co_u32_e32 v5, vcc, v5, v6
	v_subb_co_u32_e64 v6, s[0:1], v13, v14, vcc
	v_subrev_co_u32_e64 v13, s[0:1], s20, v5
	v_subbrev_co_u32_e64 v6, s[0:1], 0, v6, s[0:1]
	v_cmp_le_u32_e64 s[0:1], s21, v6
	v_cndmask_b32_e64 v14, 0, -1, s[0:1]
	v_cmp_le_u32_e64 s[0:1], s20, v13
	v_cndmask_b32_e64 v13, 0, -1, s[0:1]
	v_cmp_eq_u32_e64 s[0:1], s21, v6
	v_cndmask_b32_e64 v6, v14, v13, s[0:1]
	v_add_co_u32_e64 v13, s[0:1], 2, v9
	v_subb_co_u32_e32 v7, vcc, v8, v7, vcc
	v_addc_co_u32_e64 v14, s[0:1], 0, v12, s[0:1]
	v_cmp_le_u32_e32 vcc, s21, v7
	v_add_co_u32_e64 v15, s[0:1], 1, v9
	v_cndmask_b32_e64 v8, 0, -1, vcc
	v_cmp_le_u32_e32 vcc, s20, v5
	v_addc_co_u32_e64 v16, s[0:1], 0, v12, s[0:1]
	v_cndmask_b32_e64 v5, 0, -1, vcc
	v_cmp_eq_u32_e32 vcc, s21, v7
	v_cmp_ne_u32_e64 s[0:1], 0, v6
	v_cndmask_b32_e32 v5, v8, v5, vcc
	v_cndmask_b32_e64 v6, v16, v14, s[0:1]
	v_cmp_ne_u32_e32 vcc, 0, v5
	v_cndmask_b32_e64 v5, v15, v13, s[0:1]
	v_cndmask_b32_e32 v7, v12, v6, vcc
	v_cndmask_b32_e32 v6, v9, v5, vcc
                                        ; implicit-def: $vgpr5
.LBB32_3:
	s_or_saveexec_b64 s[0:1], s[12:13]
	s_load_dwordx4 s[12:15], s[4:5], 0x0
	s_xor_b64 exec, exec, s[0:1]
	s_cbranch_execz .LBB32_5
; %bb.4:
	v_cvt_f32_u32_e32 v6, s20
	s_sub_i32 s16, 0, s20
	v_rcp_iflag_f32_e32 v6, v6
	v_mul_f32_e32 v6, 0x4f7ffffe, v6
	v_cvt_u32_f32_e32 v6, v6
	v_mul_lo_u32 v7, s16, v6
	v_mul_hi_u32 v7, v6, v7
	v_add_u32_e32 v6, v6, v7
	v_mul_hi_u32 v6, v5, v6
	v_mul_lo_u32 v7, v6, s20
	v_sub_u32_e32 v5, v5, v7
	v_add_u32_e32 v8, 1, v6
	v_subrev_u32_e32 v7, s20, v5
	v_cmp_le_u32_e32 vcc, s20, v5
	v_cndmask_b32_e32 v5, v5, v7, vcc
	v_cndmask_b32_e32 v6, v6, v8, vcc
	v_add_u32_e32 v7, 1, v6
	v_cmp_le_u32_e32 vcc, s20, v5
	v_cndmask_b32_e32 v6, v6, v7, vcc
	v_mov_b32_e32 v7, 0
.LBB32_5:
	s_or_b64 exec, exec, s[0:1]
	s_load_dwordx4 s[16:19], s[4:5], 0x10
	v_add_co_u32_e32 v4, vcc, v6, v4
	v_addc_co_u32_e32 v5, vcc, 0, v7, vcc
	s_waitcnt lgkmcnt(0)
	s_lshl_b64 s[4:5], s[16:17], 1
	s_add_u32 s22, s4, -2
	v_add_co_u32_e32 v20, vcc, 1, v4
	s_addc_u32 s23, s5, -1
	v_addc_co_u32_e32 v21, vcc, 0, v5, vcc
	s_mov_b64 s[0:1], 0
	v_cmp_lt_i64_e64 s[28:29], s[22:23], 1
	v_cmp_gt_i64_e64 s[24:25], s[22:23], 0
	v_cmp_lt_u64_e32 vcc, 3, v[20:21]
                                        ; kill: def $vgpr4_vgpr5 killed $sgpr0_sgpr1 killed $exec
                                        ; implicit-def: $sgpr30_sgpr31
                                        ; implicit-def: $sgpr36_sgpr37
	s_and_saveexec_b64 s[4:5], vcc
	s_xor_b64 s[26:27], exec, s[4:5]
	s_cbranch_execz .LBB32_49
; %bb.6:
	v_mad_u64_u32 v[8:9], s[0:1], s20, 3, v[2:3]
	v_mov_b32_e32 v12, v9
	v_mad_u64_u32 v[6:7], s[0:1], s20, 2, v[2:3]
	v_mad_u64_u32 v[4:5], s[0:1], s20, 1, v[2:3]
	;; [unrolled: 1-line block ×3, first 2 shown]
	s_lshl_b64 s[34:35], s[20:21], 2
	s_xor_b64 s[48:49], s[28:29], -1
	v_mov_b32_e32 v9, v12
	s_sub_u32 s30, 0, s8
	v_mov_b32_e32 v12, s19
	v_subrev_co_u32_e32 v24, vcc, s18, v2
	s_mul_i32 s0, s21, 6
	s_mul_hi_u32 s1, s20, 6
	s_subb_u32 s31, 0, s9
	v_subb_co_u32_e32 v25, vcc, v3, v12, vcc
	s_add_i32 s65, s1, s0
	v_lshlrev_b64 v[12:13], 1, v[2:3]
	s_lshl_b64 s[50:51], s[20:21], 3
	s_lshl_b64 s[36:37], s[20:21], 1
	;; [unrolled: 1-line block ×3, first 2 shown]
	v_mov_b32_e32 v14, s15
	v_add_co_u32_e32 v26, vcc, s14, v12
	s_add_u32 s0, s0, s6
	v_addc_co_u32_e32 v27, vcc, v14, v13, vcc
	s_addc_u32 s1, s1, 0
	v_mov_b32_e32 v14, s7
	s_mul_i32 s3, s1, s7
	v_mad_u64_u32 v[12:13], s[0:1], s0, v14, v[0:1]
	s_mul_i32 s1, s2, 3
	s_mul_hi_u32 s0, s2, 3
	s_add_u32 s1, s1, s6
	v_add_u32_e32 v13, s3, v13
	v_mov_b32_e32 v15, s19
	v_subrev_co_u32_e32 v28, vcc, s18, v12
	s_addc_u32 s0, s0, 0
	v_subb_co_u32_e32 v29, vcc, v13, v15, vcc
	s_mul_i32 s2, s0, s7
	v_mad_u64_u32 v[0:1], s[0:1], s1, v14, v[0:1]
	v_add_u32_e32 v1, s2, v1
	v_mov_b32_e32 v12, s19
	v_subrev_co_u32_e32 v0, vcc, s18, v0
	v_subb_co_u32_e32 v1, vcc, v1, v12, vcc
	v_lshl_add_u32 v7, s21, 1, v7
	v_add_u32_e32 v5, s21, v5
	v_subrev_co_u32_e32 v30, vcc, s18, v10
	v_and_b32_e32 v22, -4, v20
	v_mov_b32_e32 v23, v21
	v_subb_co_u32_e32 v31, vcc, v11, v12, vcc
	v_pk_mov_b32 v[10:11], v[8:9], v[8:9] op_sel:[0,1]
	s_mov_b32 s33, s34
	s_mov_b32 s54, s35
	;; [unrolled: 1-line block ×20, first 2 shown]
	s_mov_b64 s[46:47], 0
	s_mul_i32 s66, s20, 6
	v_mov_b32_e32 v32, 0
	v_pk_mov_b32 v[34:35], v[22:23], v[22:23] op_sel:[0,1]
	v_pk_mov_b32 v[8:9], v[6:7], v[6:7] op_sel:[0,1]
	;; [unrolled: 1-line block ×4, first 2 shown]
	s_branch .LBB32_9
.LBB32_7:                               ;   in Loop: Header=BB32_9 Depth=1
	s_or_b64 exec, exec, s[0:1]
.LBB32_8:                               ;   in Loop: Header=BB32_9 Depth=1
	v_ashrrev_i32_e32 v49, 31, v13
	v_and_b32_e32 v50, s23, v49
	v_and_b32_e32 v49, s22, v49
	v_ashrrev_i32_e32 v47, 31, v15
	v_add_co_u32_e32 v12, vcc, v49, v12
	v_and_b32_e32 v48, s60, v47
	v_and_b32_e32 v47, s59, v47
	v_addc_co_u32_e32 v13, vcc, v50, v13, vcc
	v_ashrrev_i32_e32 v45, 31, v17
	v_add_co_u32_e32 v14, vcc, v47, v14
	v_and_b32_e32 v46, s62, v45
	v_and_b32_e32 v45, s61, v45
	v_addc_co_u32_e32 v15, vcc, v48, v15, vcc
	;; [unrolled: 5-line block ×3, first 2 shown]
	v_add_co_u32_e32 v18, vcc, v33, v18
	v_addc_co_u32_e32 v19, vcc, v44, v19, vcc
	v_mov_b32_e32 v33, s64
	v_sub_co_u32_e32 v44, vcc, s63, v18
	v_subb_co_u32_e32 v33, vcc, v33, v19, vcc
	v_mov_b32_e32 v45, s62
	v_sub_co_u32_e32 v46, vcc, s61, v16
	v_subb_co_u32_e32 v45, vcc, v45, v17, vcc
	;; [unrolled: 3-line block ×4, first 2 shown]
	v_cmp_gt_i64_e32 vcc, s[38:39], v[12:13]
	v_cndmask_b32_e32 v50, v50, v12, vcc
	v_cndmask_b32_e32 v49, v49, v13, vcc
	v_cmp_gt_i64_e32 vcc, s[40:41], v[14:15]
	v_cndmask_b32_e32 v48, v48, v14, vcc
	v_cndmask_b32_e32 v47, v47, v15, vcc
	;; [unrolled: 3-line block ×4, first 2 shown]
	v_mul_lo_u32 v33, v43, s44
	v_mul_lo_u32 v44, v42, s45
	v_mad_u64_u32 v[42:43], s[0:1], v42, s44, 0
	v_add3_u32 v43, v43, v44, v33
	v_mul_lo_u32 v33, v41, s42
	v_mul_lo_u32 v44, v40, s43
	v_mad_u64_u32 v[40:41], s[0:1], v40, s42, 0
	v_add3_u32 v41, v41, v44, v33
	;; [unrolled: 4-line block ×4, first 2 shown]
	v_lshlrev_b64 v[36:37], 1, v[36:37]
	v_mov_b32_e32 v33, s13
	v_add_co_u32_e32 v44, vcc, s12, v36
	v_addc_co_u32_e32 v45, vcc, v33, v37, vcc
	v_lshlrev_b64 v[36:37], 1, v[38:39]
	v_add_co_u32_e32 v38, vcc, s12, v36
	v_addc_co_u32_e32 v39, vcc, v33, v37, vcc
	v_lshlrev_b64 v[36:37], 1, v[40:41]
	;; [unrolled: 3-line block ×3, first 2 shown]
	v_cndmask_b32_e64 v19, v49, 0, s[28:29]
	v_cndmask_b32_e64 v18, v50, 0, s[28:29]
	v_add_co_u32_e32 v36, vcc, s12, v36
	v_addc_co_u32_e32 v33, vcc, v33, v37, vcc
	v_lshlrev_b64 v[18:19], 1, v[18:19]
	v_cndmask_b32_e64 v17, v47, 0, s[28:29]
	v_cndmask_b32_e64 v16, v48, 0, s[28:29]
	v_add_co_u32_e32 v18, vcc, v44, v18
	v_addc_co_u32_e32 v19, vcc, v45, v19, vcc
	v_lshlrev_b64 v[16:17], 1, v[16:17]
	;; [unrolled: 5-line block ×4, first 2 shown]
	v_add_co_u32_e32 v12, vcc, v36, v12
	v_addc_co_u32_e32 v13, vcc, v33, v13, vcc
	global_load_ushort v18, v[18:19], off
	s_nop 0
	global_load_ushort v19, v[16:17], off
	global_load_ushort v33, v[14:15], off
	;; [unrolled: 1-line block ×3, first 2 shown]
	v_mov_b32_e32 v13, s37
	v_add_co_u32_e32 v12, vcc, s36, v26
	v_addc_co_u32_e32 v13, vcc, v27, v13, vcc
	v_mov_b32_e32 v37, s35
	v_add_co_u32_e32 v14, vcc, s34, v26
	v_addc_co_u32_e32 v15, vcc, v27, v37, vcc
	;; [unrolled: 3-line block ×3, first 2 shown]
	s_waitcnt vmcnt(3)
	global_store_short v[26:27], v18, off
	s_waitcnt vmcnt(3)
	global_store_short v[12:13], v19, off
	;; [unrolled: 2-line block ×4, first 2 shown]
	v_mov_b32_e32 v12, s58
	v_add_co_u32_e32 v10, vcc, s57, v10
	v_addc_co_u32_e32 v11, vcc, v11, v12, vcc
	v_mov_b32_e32 v12, s56
	v_add_co_u32_e32 v8, vcc, s55, v8
	v_addc_co_u32_e32 v9, vcc, v9, v12, vcc
	;; [unrolled: 3-line block ×4, first 2 shown]
	v_add_co_u32_e32 v34, vcc, -4, v34
	v_addc_co_u32_e32 v35, vcc, -1, v35, vcc
	v_add_co_u32_e32 v24, vcc, s34, v24
	v_addc_co_u32_e32 v25, vcc, v25, v37, vcc
	v_mov_b32_e32 v12, s51
	v_add_co_u32_e32 v26, vcc, s50, v26
	v_addc_co_u32_e32 v27, vcc, v27, v12, vcc
	v_add_co_u32_e32 v28, vcc, s34, v28
	v_addc_co_u32_e32 v29, vcc, v29, v37, vcc
	;; [unrolled: 2-line block ×3, first 2 shown]
	v_cmp_eq_u64_e32 vcc, 0, v[34:35]
	s_or_b64 s[46:47], vcc, s[46:47]
	v_add_co_u32_e32 v30, vcc, s34, v30
	v_addc_co_u32_e32 v31, vcc, v31, v37, vcc
	s_andn2_b64 exec, exec, s[46:47]
	s_cbranch_execz .LBB32_48
.LBB32_9:                               ; =>This Inner Loop Header: Depth=1
	v_or_b32_e32 v33, s9, v5
	v_cmp_ne_u64_e32 vcc, 0, v[32:33]
                                        ; implicit-def: $vgpr36_vgpr37
	s_and_saveexec_b64 s[0:1], vcc
	s_xor_b64 s[2:3], exec, s[0:1]
	s_cbranch_execz .LBB32_11
; %bb.10:                               ;   in Loop: Header=BB32_9 Depth=1
	s_ashr_i32 s4, s9, 31
	s_add_u32 s0, s8, s4
	s_mov_b32 s5, s4
	s_addc_u32 s1, s9, s4
	s_xor_b64 s[6:7], s[0:1], s[4:5]
	v_cvt_f32_u32_e32 v12, s6
	v_cvt_f32_u32_e32 v13, s7
	s_sub_u32 s0, 0, s6
	s_subb_u32 s1, 0, s7
	v_mac_f32_e32 v12, 0x4f800000, v13
	v_rcp_f32_e32 v12, v12
	v_mul_f32_e32 v12, 0x5f7ffffc, v12
	v_mul_f32_e32 v13, 0x2f800000, v12
	v_trunc_f32_e32 v13, v13
	v_mac_f32_e32 v12, 0xcf800000, v13
	v_cvt_u32_f32_e32 v13, v13
	v_cvt_u32_f32_e32 v12, v12
	v_mul_lo_u32 v14, s0, v13
	v_mul_hi_u32 v16, s0, v12
	v_mul_lo_u32 v15, s1, v12
	v_add_u32_e32 v14, v16, v14
	v_mul_lo_u32 v17, s0, v12
	v_add_u32_e32 v14, v14, v15
	v_mul_lo_u32 v16, v12, v14
	v_mul_hi_u32 v18, v12, v17
	v_mul_hi_u32 v15, v12, v14
	v_add_co_u32_e32 v16, vcc, v18, v16
	v_addc_co_u32_e32 v15, vcc, 0, v15, vcc
	v_mul_hi_u32 v19, v13, v17
	v_mul_lo_u32 v17, v13, v17
	v_add_co_u32_e32 v16, vcc, v16, v17
	v_mul_hi_u32 v18, v13, v14
	v_addc_co_u32_e32 v15, vcc, v15, v19, vcc
	v_addc_co_u32_e32 v16, vcc, 0, v18, vcc
	v_mul_lo_u32 v14, v13, v14
	v_add_co_u32_e32 v14, vcc, v15, v14
	v_addc_co_u32_e32 v15, vcc, 0, v16, vcc
	v_add_co_u32_e32 v12, vcc, v12, v14
	v_addc_co_u32_e32 v13, vcc, v13, v15, vcc
	v_mul_lo_u32 v14, s0, v13
	v_mul_hi_u32 v15, s0, v12
	v_add_u32_e32 v14, v15, v14
	v_mul_lo_u32 v15, s1, v12
	v_add_u32_e32 v14, v14, v15
	v_mul_lo_u32 v16, s0, v12
	v_mul_hi_u32 v17, v13, v16
	v_mul_lo_u32 v18, v13, v16
	v_mul_lo_u32 v33, v12, v14
	v_mul_hi_u32 v16, v12, v16
	v_mul_hi_u32 v19, v12, v14
	v_add_co_u32_e32 v16, vcc, v16, v33
	v_addc_co_u32_e32 v19, vcc, 0, v19, vcc
	v_add_co_u32_e32 v16, vcc, v16, v18
	v_mul_hi_u32 v15, v13, v14
	v_addc_co_u32_e32 v16, vcc, v19, v17, vcc
	v_addc_co_u32_e32 v15, vcc, 0, v15, vcc
	v_mul_lo_u32 v14, v13, v14
	v_add_co_u32_e32 v14, vcc, v16, v14
	v_addc_co_u32_e32 v15, vcc, 0, v15, vcc
	v_add_co_u32_e32 v14, vcc, v12, v14
	v_addc_co_u32_e32 v15, vcc, v13, v15, vcc
	v_ashrrev_i32_e32 v16, 31, v5
	v_add_co_u32_e32 v12, vcc, v4, v16
	v_addc_co_u32_e32 v13, vcc, v5, v16, vcc
	v_xor_b32_e32 v18, v12, v16
	v_xor_b32_e32 v17, v13, v16
	v_mad_u64_u32 v[12:13], s[0:1], v18, v15, 0
	v_mul_hi_u32 v19, v18, v14
	v_add_co_u32_e32 v19, vcc, v19, v12
	v_addc_co_u32_e32 v33, vcc, 0, v13, vcc
	v_mad_u64_u32 v[12:13], s[0:1], v17, v15, 0
	v_mad_u64_u32 v[14:15], s[0:1], v17, v14, 0
	v_add_co_u32_e32 v14, vcc, v19, v14
	v_addc_co_u32_e32 v14, vcc, v33, v15, vcc
	v_addc_co_u32_e32 v13, vcc, 0, v13, vcc
	v_add_co_u32_e32 v14, vcc, v14, v12
	v_addc_co_u32_e32 v15, vcc, 0, v13, vcc
	v_mul_lo_u32 v19, s7, v14
	v_mul_lo_u32 v33, s6, v15
	v_mad_u64_u32 v[12:13], s[0:1], s6, v14, 0
	v_add3_u32 v13, v13, v33, v19
	v_sub_u32_e32 v19, v17, v13
	v_mov_b32_e32 v33, s7
	v_sub_co_u32_e32 v12, vcc, v18, v12
	v_subb_co_u32_e64 v18, s[0:1], v19, v33, vcc
	v_subrev_co_u32_e64 v19, s[0:1], s6, v12
	v_subbrev_co_u32_e64 v18, s[0:1], 0, v18, s[0:1]
	v_cmp_le_u32_e64 s[0:1], s7, v18
	v_cndmask_b32_e64 v33, 0, -1, s[0:1]
	v_cmp_le_u32_e64 s[0:1], s6, v19
	v_cndmask_b32_e64 v19, 0, -1, s[0:1]
	v_cmp_eq_u32_e64 s[0:1], s7, v18
	v_cndmask_b32_e64 v18, v33, v19, s[0:1]
	v_add_co_u32_e64 v19, s[0:1], 2, v14
	v_subb_co_u32_e32 v13, vcc, v17, v13, vcc
	v_addc_co_u32_e64 v33, s[0:1], 0, v15, s[0:1]
	v_cmp_le_u32_e32 vcc, s7, v13
	v_add_co_u32_e64 v36, s[0:1], 1, v14
	v_cndmask_b32_e64 v17, 0, -1, vcc
	v_cmp_le_u32_e32 vcc, s6, v12
	v_addc_co_u32_e64 v37, s[0:1], 0, v15, s[0:1]
	v_cndmask_b32_e64 v12, 0, -1, vcc
	v_cmp_eq_u32_e32 vcc, s7, v13
	v_cmp_ne_u32_e64 s[0:1], 0, v18
	v_cndmask_b32_e32 v12, v17, v12, vcc
	v_cmp_ne_u32_e32 vcc, 0, v12
	v_cndmask_b32_e64 v13, v36, v19, s[0:1]
	v_cndmask_b32_e64 v18, v37, v33, s[0:1]
	v_cndmask_b32_e32 v13, v14, v13, vcc
	v_xor_b32_e32 v14, s4, v16
	v_cndmask_b32_e32 v12, v15, v18, vcc
	v_xor_b32_e32 v13, v13, v14
	v_xor_b32_e32 v12, v12, v14
	v_sub_co_u32_e32 v36, vcc, v13, v14
	v_subb_co_u32_e32 v37, vcc, v12, v14, vcc
.LBB32_11:                              ;   in Loop: Header=BB32_9 Depth=1
	s_or_saveexec_b64 s[0:1], s[2:3]
	v_cvt_f32_u32_e32 v12, s8
	v_rcp_iflag_f32_e32 v12, v12
	s_xor_b64 exec, exec, s[0:1]
	s_cbranch_execz .LBB32_13
; %bb.12:                               ;   in Loop: Header=BB32_9 Depth=1
	v_mul_f32_e32 v13, 0x4f7ffffe, v12
	v_cvt_u32_f32_e32 v13, v13
	s_sub_i32 s2, 0, s8
	v_mov_b32_e32 v37, v32
	v_mul_lo_u32 v14, s2, v13
	v_mul_hi_u32 v14, v13, v14
	v_add_u32_e32 v13, v13, v14
	v_mul_hi_u32 v13, v4, v13
	v_mul_lo_u32 v14, v13, s8
	v_sub_u32_e32 v14, v4, v14
	v_add_u32_e32 v15, 1, v13
	v_subrev_u32_e32 v16, s8, v14
	v_cmp_le_u32_e32 vcc, s8, v14
	v_cndmask_b32_e32 v14, v14, v16, vcc
	v_cndmask_b32_e32 v13, v13, v15, vcc
	v_add_u32_e32 v15, 1, v13
	v_cmp_le_u32_e32 vcc, s8, v14
	v_cndmask_b32_e32 v36, v13, v15, vcc
.LBB32_13:                              ;   in Loop: Header=BB32_9 Depth=1
	s_or_b64 exec, exec, s[0:1]
	v_or_b32_e32 v33, s9, v7
	v_cmp_ne_u64_e32 vcc, 0, v[32:33]
                                        ; implicit-def: $vgpr38_vgpr39
	s_and_saveexec_b64 s[0:1], vcc
	s_xor_b64 s[2:3], exec, s[0:1]
	s_cbranch_execz .LBB32_15
; %bb.14:                               ;   in Loop: Header=BB32_9 Depth=1
	s_ashr_i32 s4, s9, 31
	s_add_u32 s0, s8, s4
	s_mov_b32 s5, s4
	s_addc_u32 s1, s9, s4
	s_xor_b64 s[6:7], s[0:1], s[4:5]
	v_cvt_f32_u32_e32 v13, s6
	v_cvt_f32_u32_e32 v14, s7
	s_sub_u32 s0, 0, s6
	s_subb_u32 s1, 0, s7
	v_mac_f32_e32 v13, 0x4f800000, v14
	v_rcp_f32_e32 v13, v13
	v_mul_f32_e32 v13, 0x5f7ffffc, v13
	v_mul_f32_e32 v14, 0x2f800000, v13
	v_trunc_f32_e32 v14, v14
	v_mac_f32_e32 v13, 0xcf800000, v14
	v_cvt_u32_f32_e32 v14, v14
	v_cvt_u32_f32_e32 v13, v13
	v_mul_lo_u32 v15, s0, v14
	v_mul_hi_u32 v17, s0, v13
	v_mul_lo_u32 v16, s1, v13
	v_add_u32_e32 v15, v17, v15
	v_mul_lo_u32 v18, s0, v13
	v_add_u32_e32 v15, v15, v16
	v_mul_lo_u32 v17, v13, v15
	v_mul_hi_u32 v19, v13, v18
	v_mul_hi_u32 v16, v13, v15
	v_add_co_u32_e32 v17, vcc, v19, v17
	v_addc_co_u32_e32 v16, vcc, 0, v16, vcc
	v_mul_hi_u32 v33, v14, v18
	v_mul_lo_u32 v18, v14, v18
	v_add_co_u32_e32 v17, vcc, v17, v18
	v_mul_hi_u32 v19, v14, v15
	v_addc_co_u32_e32 v16, vcc, v16, v33, vcc
	v_addc_co_u32_e32 v17, vcc, 0, v19, vcc
	v_mul_lo_u32 v15, v14, v15
	v_add_co_u32_e32 v15, vcc, v16, v15
	v_addc_co_u32_e32 v16, vcc, 0, v17, vcc
	v_add_co_u32_e32 v13, vcc, v13, v15
	v_addc_co_u32_e32 v14, vcc, v14, v16, vcc
	v_mul_lo_u32 v15, s0, v14
	v_mul_hi_u32 v16, s0, v13
	v_add_u32_e32 v15, v16, v15
	v_mul_lo_u32 v16, s1, v13
	v_add_u32_e32 v15, v15, v16
	v_mul_lo_u32 v17, s0, v13
	v_mul_hi_u32 v18, v14, v17
	v_mul_lo_u32 v19, v14, v17
	v_mul_lo_u32 v38, v13, v15
	v_mul_hi_u32 v17, v13, v17
	v_mul_hi_u32 v33, v13, v15
	v_add_co_u32_e32 v17, vcc, v17, v38
	v_addc_co_u32_e32 v33, vcc, 0, v33, vcc
	v_add_co_u32_e32 v17, vcc, v17, v19
	v_mul_hi_u32 v16, v14, v15
	v_addc_co_u32_e32 v17, vcc, v33, v18, vcc
	v_addc_co_u32_e32 v16, vcc, 0, v16, vcc
	v_mul_lo_u32 v15, v14, v15
	v_add_co_u32_e32 v15, vcc, v17, v15
	v_addc_co_u32_e32 v16, vcc, 0, v16, vcc
	v_add_co_u32_e32 v13, vcc, v13, v15
	v_addc_co_u32_e32 v16, vcc, v14, v16, vcc
	v_ashrrev_i32_e32 v18, 31, v7
	v_add_co_u32_e32 v14, vcc, v6, v18
	v_addc_co_u32_e32 v15, vcc, v7, v18, vcc
	v_xor_b32_e32 v33, v14, v18
	v_xor_b32_e32 v19, v15, v18
	v_mad_u64_u32 v[14:15], s[0:1], v33, v16, 0
	v_mul_hi_u32 v17, v33, v13
	v_add_co_u32_e32 v38, vcc, v17, v14
	v_addc_co_u32_e32 v39, vcc, 0, v15, vcc
	v_mad_u64_u32 v[14:15], s[0:1], v19, v16, 0
	v_mad_u64_u32 v[16:17], s[0:1], v19, v13, 0
	v_add_co_u32_e32 v13, vcc, v38, v16
	v_addc_co_u32_e32 v13, vcc, v39, v17, vcc
	v_addc_co_u32_e32 v15, vcc, 0, v15, vcc
	v_add_co_u32_e32 v13, vcc, v13, v14
	v_addc_co_u32_e32 v16, vcc, 0, v15, vcc
	v_mul_lo_u32 v17, s7, v13
	v_mul_lo_u32 v38, s6, v16
	v_mad_u64_u32 v[14:15], s[0:1], s6, v13, 0
	v_add3_u32 v15, v15, v38, v17
	v_sub_u32_e32 v17, v19, v15
	v_mov_b32_e32 v38, s7
	v_sub_co_u32_e32 v14, vcc, v33, v14
	v_subb_co_u32_e64 v17, s[0:1], v17, v38, vcc
	v_subrev_co_u32_e64 v33, s[0:1], s6, v14
	v_subbrev_co_u32_e64 v17, s[0:1], 0, v17, s[0:1]
	v_cmp_le_u32_e64 s[0:1], s7, v17
	v_cndmask_b32_e64 v38, 0, -1, s[0:1]
	v_cmp_le_u32_e64 s[0:1], s6, v33
	v_cndmask_b32_e64 v33, 0, -1, s[0:1]
	v_cmp_eq_u32_e64 s[0:1], s7, v17
	v_cndmask_b32_e64 v17, v38, v33, s[0:1]
	v_add_co_u32_e64 v33, s[0:1], 2, v13
	v_subb_co_u32_e32 v15, vcc, v19, v15, vcc
	v_addc_co_u32_e64 v38, s[0:1], 0, v16, s[0:1]
	v_cmp_le_u32_e32 vcc, s7, v15
	v_add_co_u32_e64 v39, s[0:1], 1, v13
	v_cndmask_b32_e64 v19, 0, -1, vcc
	v_cmp_le_u32_e32 vcc, s6, v14
	v_addc_co_u32_e64 v40, s[0:1], 0, v16, s[0:1]
	v_cndmask_b32_e64 v14, 0, -1, vcc
	v_cmp_eq_u32_e32 vcc, s7, v15
	v_cmp_ne_u32_e64 s[0:1], 0, v17
	v_cndmask_b32_e32 v14, v19, v14, vcc
	v_cmp_ne_u32_e32 vcc, 0, v14
	v_cndmask_b32_e64 v15, v39, v33, s[0:1]
	v_cndmask_b32_e64 v17, v40, v38, s[0:1]
	v_cndmask_b32_e32 v13, v13, v15, vcc
	v_xor_b32_e32 v15, s4, v18
	v_cndmask_b32_e32 v14, v16, v17, vcc
	v_xor_b32_e32 v13, v13, v15
	v_xor_b32_e32 v14, v14, v15
	v_sub_co_u32_e32 v38, vcc, v13, v15
	v_subb_co_u32_e32 v39, vcc, v14, v15, vcc
.LBB32_15:                              ;   in Loop: Header=BB32_9 Depth=1
	s_andn2_saveexec_b64 s[0:1], s[2:3]
	s_cbranch_execz .LBB32_17
; %bb.16:                               ;   in Loop: Header=BB32_9 Depth=1
	v_mul_f32_e32 v13, 0x4f7ffffe, v12
	v_cvt_u32_f32_e32 v13, v13
	s_sub_i32 s2, 0, s8
	v_mov_b32_e32 v39, v32
	v_mul_lo_u32 v14, s2, v13
	v_mul_hi_u32 v14, v13, v14
	v_add_u32_e32 v13, v13, v14
	v_mul_hi_u32 v13, v6, v13
	v_mul_lo_u32 v14, v13, s8
	v_sub_u32_e32 v14, v6, v14
	v_add_u32_e32 v15, 1, v13
	v_subrev_u32_e32 v16, s8, v14
	v_cmp_le_u32_e32 vcc, s8, v14
	v_cndmask_b32_e32 v14, v14, v16, vcc
	v_cndmask_b32_e32 v13, v13, v15, vcc
	v_add_u32_e32 v15, 1, v13
	v_cmp_le_u32_e32 vcc, s8, v14
	v_cndmask_b32_e32 v38, v13, v15, vcc
.LBB32_17:                              ;   in Loop: Header=BB32_9 Depth=1
	s_or_b64 exec, exec, s[0:1]
	v_or_b32_e32 v33, s9, v9
	v_cmp_ne_u64_e32 vcc, 0, v[32:33]
                                        ; implicit-def: $vgpr40_vgpr41
	s_and_saveexec_b64 s[0:1], vcc
	s_xor_b64 s[2:3], exec, s[0:1]
	s_cbranch_execz .LBB32_19
; %bb.18:                               ;   in Loop: Header=BB32_9 Depth=1
	s_ashr_i32 s4, s9, 31
	s_add_u32 s0, s8, s4
	s_mov_b32 s5, s4
	s_addc_u32 s1, s9, s4
	s_xor_b64 s[6:7], s[0:1], s[4:5]
	v_cvt_f32_u32_e32 v13, s6
	v_cvt_f32_u32_e32 v14, s7
	s_sub_u32 s0, 0, s6
	s_subb_u32 s1, 0, s7
	v_mac_f32_e32 v13, 0x4f800000, v14
	v_rcp_f32_e32 v13, v13
	v_mul_f32_e32 v13, 0x5f7ffffc, v13
	v_mul_f32_e32 v14, 0x2f800000, v13
	v_trunc_f32_e32 v14, v14
	v_mac_f32_e32 v13, 0xcf800000, v14
	v_cvt_u32_f32_e32 v14, v14
	v_cvt_u32_f32_e32 v13, v13
	v_mul_lo_u32 v15, s0, v14
	v_mul_hi_u32 v17, s0, v13
	v_mul_lo_u32 v16, s1, v13
	v_add_u32_e32 v15, v17, v15
	v_mul_lo_u32 v18, s0, v13
	v_add_u32_e32 v15, v15, v16
	v_mul_lo_u32 v17, v13, v15
	v_mul_hi_u32 v19, v13, v18
	v_mul_hi_u32 v16, v13, v15
	v_add_co_u32_e32 v17, vcc, v19, v17
	v_addc_co_u32_e32 v16, vcc, 0, v16, vcc
	v_mul_hi_u32 v33, v14, v18
	v_mul_lo_u32 v18, v14, v18
	v_add_co_u32_e32 v17, vcc, v17, v18
	v_mul_hi_u32 v19, v14, v15
	v_addc_co_u32_e32 v16, vcc, v16, v33, vcc
	v_addc_co_u32_e32 v17, vcc, 0, v19, vcc
	v_mul_lo_u32 v15, v14, v15
	v_add_co_u32_e32 v15, vcc, v16, v15
	v_addc_co_u32_e32 v16, vcc, 0, v17, vcc
	v_add_co_u32_e32 v13, vcc, v13, v15
	v_addc_co_u32_e32 v14, vcc, v14, v16, vcc
	v_mul_lo_u32 v15, s0, v14
	v_mul_hi_u32 v16, s0, v13
	v_add_u32_e32 v15, v16, v15
	v_mul_lo_u32 v16, s1, v13
	v_add_u32_e32 v15, v15, v16
	v_mul_lo_u32 v17, s0, v13
	v_mul_hi_u32 v18, v14, v17
	v_mul_lo_u32 v19, v14, v17
	v_mul_lo_u32 v40, v13, v15
	v_mul_hi_u32 v17, v13, v17
	v_mul_hi_u32 v33, v13, v15
	v_add_co_u32_e32 v17, vcc, v17, v40
	v_addc_co_u32_e32 v33, vcc, 0, v33, vcc
	v_add_co_u32_e32 v17, vcc, v17, v19
	v_mul_hi_u32 v16, v14, v15
	v_addc_co_u32_e32 v17, vcc, v33, v18, vcc
	v_addc_co_u32_e32 v16, vcc, 0, v16, vcc
	v_mul_lo_u32 v15, v14, v15
	v_add_co_u32_e32 v15, vcc, v17, v15
	v_addc_co_u32_e32 v16, vcc, 0, v16, vcc
	v_add_co_u32_e32 v13, vcc, v13, v15
	v_addc_co_u32_e32 v16, vcc, v14, v16, vcc
	v_ashrrev_i32_e32 v18, 31, v9
	v_add_co_u32_e32 v14, vcc, v8, v18
	v_addc_co_u32_e32 v15, vcc, v9, v18, vcc
	v_xor_b32_e32 v33, v14, v18
	v_xor_b32_e32 v19, v15, v18
	v_mad_u64_u32 v[14:15], s[0:1], v33, v16, 0
	v_mul_hi_u32 v17, v33, v13
	v_add_co_u32_e32 v40, vcc, v17, v14
	v_addc_co_u32_e32 v41, vcc, 0, v15, vcc
	v_mad_u64_u32 v[14:15], s[0:1], v19, v16, 0
	v_mad_u64_u32 v[16:17], s[0:1], v19, v13, 0
	v_add_co_u32_e32 v13, vcc, v40, v16
	v_addc_co_u32_e32 v13, vcc, v41, v17, vcc
	v_addc_co_u32_e32 v15, vcc, 0, v15, vcc
	v_add_co_u32_e32 v13, vcc, v13, v14
	v_addc_co_u32_e32 v16, vcc, 0, v15, vcc
	v_mul_lo_u32 v17, s7, v13
	v_mul_lo_u32 v40, s6, v16
	v_mad_u64_u32 v[14:15], s[0:1], s6, v13, 0
	v_add3_u32 v15, v15, v40, v17
	v_sub_u32_e32 v17, v19, v15
	v_mov_b32_e32 v40, s7
	v_sub_co_u32_e32 v14, vcc, v33, v14
	v_subb_co_u32_e64 v17, s[0:1], v17, v40, vcc
	v_subrev_co_u32_e64 v33, s[0:1], s6, v14
	v_subbrev_co_u32_e64 v17, s[0:1], 0, v17, s[0:1]
	v_cmp_le_u32_e64 s[0:1], s7, v17
	v_cndmask_b32_e64 v40, 0, -1, s[0:1]
	v_cmp_le_u32_e64 s[0:1], s6, v33
	v_cndmask_b32_e64 v33, 0, -1, s[0:1]
	v_cmp_eq_u32_e64 s[0:1], s7, v17
	v_cndmask_b32_e64 v17, v40, v33, s[0:1]
	v_add_co_u32_e64 v33, s[0:1], 2, v13
	v_subb_co_u32_e32 v15, vcc, v19, v15, vcc
	v_addc_co_u32_e64 v40, s[0:1], 0, v16, s[0:1]
	v_cmp_le_u32_e32 vcc, s7, v15
	v_add_co_u32_e64 v41, s[0:1], 1, v13
	v_cndmask_b32_e64 v19, 0, -1, vcc
	v_cmp_le_u32_e32 vcc, s6, v14
	v_addc_co_u32_e64 v42, s[0:1], 0, v16, s[0:1]
	v_cndmask_b32_e64 v14, 0, -1, vcc
	v_cmp_eq_u32_e32 vcc, s7, v15
	v_cmp_ne_u32_e64 s[0:1], 0, v17
	v_cndmask_b32_e32 v14, v19, v14, vcc
	v_cmp_ne_u32_e32 vcc, 0, v14
	v_cndmask_b32_e64 v15, v41, v33, s[0:1]
	v_cndmask_b32_e64 v17, v42, v40, s[0:1]
	v_cndmask_b32_e32 v13, v13, v15, vcc
	v_xor_b32_e32 v15, s4, v18
	v_cndmask_b32_e32 v14, v16, v17, vcc
	v_xor_b32_e32 v13, v13, v15
	v_xor_b32_e32 v14, v14, v15
	v_sub_co_u32_e32 v40, vcc, v13, v15
	v_subb_co_u32_e32 v41, vcc, v14, v15, vcc
.LBB32_19:                              ;   in Loop: Header=BB32_9 Depth=1
	s_andn2_saveexec_b64 s[0:1], s[2:3]
	s_cbranch_execz .LBB32_21
; %bb.20:                               ;   in Loop: Header=BB32_9 Depth=1
	v_mul_f32_e32 v13, 0x4f7ffffe, v12
	v_cvt_u32_f32_e32 v13, v13
	s_sub_i32 s2, 0, s8
	v_mov_b32_e32 v41, v32
	v_mul_lo_u32 v14, s2, v13
	v_mul_hi_u32 v14, v13, v14
	v_add_u32_e32 v13, v13, v14
	v_mul_hi_u32 v13, v8, v13
	v_mul_lo_u32 v14, v13, s8
	v_sub_u32_e32 v14, v8, v14
	v_add_u32_e32 v15, 1, v13
	v_subrev_u32_e32 v16, s8, v14
	v_cmp_le_u32_e32 vcc, s8, v14
	v_cndmask_b32_e32 v14, v14, v16, vcc
	v_cndmask_b32_e32 v13, v13, v15, vcc
	v_add_u32_e32 v15, 1, v13
	v_cmp_le_u32_e32 vcc, s8, v14
	v_cndmask_b32_e32 v40, v13, v15, vcc
.LBB32_21:                              ;   in Loop: Header=BB32_9 Depth=1
	s_or_b64 exec, exec, s[0:1]
	v_or_b32_e32 v33, s9, v11
	v_cmp_ne_u64_e32 vcc, 0, v[32:33]
                                        ; implicit-def: $vgpr42_vgpr43
	s_and_saveexec_b64 s[0:1], vcc
	s_xor_b64 s[2:3], exec, s[0:1]
	s_cbranch_execz .LBB32_23
; %bb.22:                               ;   in Loop: Header=BB32_9 Depth=1
	s_ashr_i32 s4, s9, 31
	s_add_u32 s0, s8, s4
	s_mov_b32 s5, s4
	s_addc_u32 s1, s9, s4
	s_xor_b64 s[6:7], s[0:1], s[4:5]
	v_cvt_f32_u32_e32 v12, s6
	v_cvt_f32_u32_e32 v13, s7
	s_sub_u32 s0, 0, s6
	s_subb_u32 s1, 0, s7
	v_mac_f32_e32 v12, 0x4f800000, v13
	v_rcp_f32_e32 v12, v12
	v_mul_f32_e32 v12, 0x5f7ffffc, v12
	v_mul_f32_e32 v13, 0x2f800000, v12
	v_trunc_f32_e32 v13, v13
	v_mac_f32_e32 v12, 0xcf800000, v13
	v_cvt_u32_f32_e32 v13, v13
	v_cvt_u32_f32_e32 v12, v12
	v_mul_lo_u32 v14, s0, v13
	v_mul_hi_u32 v16, s0, v12
	v_mul_lo_u32 v15, s1, v12
	v_add_u32_e32 v14, v16, v14
	v_mul_lo_u32 v17, s0, v12
	v_add_u32_e32 v14, v14, v15
	v_mul_lo_u32 v16, v12, v14
	v_mul_hi_u32 v18, v12, v17
	v_mul_hi_u32 v15, v12, v14
	v_add_co_u32_e32 v16, vcc, v18, v16
	v_addc_co_u32_e32 v15, vcc, 0, v15, vcc
	v_mul_hi_u32 v19, v13, v17
	v_mul_lo_u32 v17, v13, v17
	v_add_co_u32_e32 v16, vcc, v16, v17
	v_mul_hi_u32 v18, v13, v14
	v_addc_co_u32_e32 v15, vcc, v15, v19, vcc
	v_addc_co_u32_e32 v16, vcc, 0, v18, vcc
	v_mul_lo_u32 v14, v13, v14
	v_add_co_u32_e32 v14, vcc, v15, v14
	v_addc_co_u32_e32 v15, vcc, 0, v16, vcc
	v_add_co_u32_e32 v12, vcc, v12, v14
	v_addc_co_u32_e32 v13, vcc, v13, v15, vcc
	v_mul_lo_u32 v14, s0, v13
	v_mul_hi_u32 v15, s0, v12
	v_add_u32_e32 v14, v15, v14
	v_mul_lo_u32 v15, s1, v12
	v_add_u32_e32 v14, v14, v15
	v_mul_lo_u32 v16, s0, v12
	v_mul_hi_u32 v17, v13, v16
	v_mul_lo_u32 v18, v13, v16
	v_mul_lo_u32 v33, v12, v14
	v_mul_hi_u32 v16, v12, v16
	v_mul_hi_u32 v19, v12, v14
	v_add_co_u32_e32 v16, vcc, v16, v33
	v_addc_co_u32_e32 v19, vcc, 0, v19, vcc
	v_add_co_u32_e32 v16, vcc, v16, v18
	v_mul_hi_u32 v15, v13, v14
	v_addc_co_u32_e32 v16, vcc, v19, v17, vcc
	v_addc_co_u32_e32 v15, vcc, 0, v15, vcc
	v_mul_lo_u32 v14, v13, v14
	v_add_co_u32_e32 v14, vcc, v16, v14
	v_addc_co_u32_e32 v15, vcc, 0, v15, vcc
	v_add_co_u32_e32 v14, vcc, v12, v14
	v_addc_co_u32_e32 v15, vcc, v13, v15, vcc
	v_ashrrev_i32_e32 v16, 31, v11
	v_add_co_u32_e32 v12, vcc, v10, v16
	v_addc_co_u32_e32 v13, vcc, v11, v16, vcc
	v_xor_b32_e32 v18, v12, v16
	v_xor_b32_e32 v17, v13, v16
	v_mad_u64_u32 v[12:13], s[0:1], v18, v15, 0
	v_mul_hi_u32 v19, v18, v14
	v_add_co_u32_e32 v19, vcc, v19, v12
	v_addc_co_u32_e32 v33, vcc, 0, v13, vcc
	v_mad_u64_u32 v[12:13], s[0:1], v17, v15, 0
	v_mad_u64_u32 v[14:15], s[0:1], v17, v14, 0
	v_add_co_u32_e32 v14, vcc, v19, v14
	v_addc_co_u32_e32 v14, vcc, v33, v15, vcc
	v_addc_co_u32_e32 v13, vcc, 0, v13, vcc
	v_add_co_u32_e32 v14, vcc, v14, v12
	v_addc_co_u32_e32 v15, vcc, 0, v13, vcc
	v_mul_lo_u32 v19, s7, v14
	v_mul_lo_u32 v33, s6, v15
	v_mad_u64_u32 v[12:13], s[0:1], s6, v14, 0
	v_add3_u32 v13, v13, v33, v19
	v_sub_u32_e32 v19, v17, v13
	v_mov_b32_e32 v33, s7
	v_sub_co_u32_e32 v12, vcc, v18, v12
	v_subb_co_u32_e64 v18, s[0:1], v19, v33, vcc
	v_subrev_co_u32_e64 v19, s[0:1], s6, v12
	v_subbrev_co_u32_e64 v18, s[0:1], 0, v18, s[0:1]
	v_cmp_le_u32_e64 s[0:1], s7, v18
	v_cndmask_b32_e64 v33, 0, -1, s[0:1]
	v_cmp_le_u32_e64 s[0:1], s6, v19
	v_cndmask_b32_e64 v19, 0, -1, s[0:1]
	v_cmp_eq_u32_e64 s[0:1], s7, v18
	v_cndmask_b32_e64 v18, v33, v19, s[0:1]
	v_add_co_u32_e64 v19, s[0:1], 2, v14
	v_subb_co_u32_e32 v13, vcc, v17, v13, vcc
	v_addc_co_u32_e64 v33, s[0:1], 0, v15, s[0:1]
	v_cmp_le_u32_e32 vcc, s7, v13
	v_add_co_u32_e64 v42, s[0:1], 1, v14
	v_cndmask_b32_e64 v17, 0, -1, vcc
	v_cmp_le_u32_e32 vcc, s6, v12
	v_addc_co_u32_e64 v43, s[0:1], 0, v15, s[0:1]
	v_cndmask_b32_e64 v12, 0, -1, vcc
	v_cmp_eq_u32_e32 vcc, s7, v13
	v_cmp_ne_u32_e64 s[0:1], 0, v18
	v_cndmask_b32_e32 v12, v17, v12, vcc
	v_cmp_ne_u32_e32 vcc, 0, v12
	v_cndmask_b32_e64 v13, v42, v19, s[0:1]
	v_cndmask_b32_e64 v18, v43, v33, s[0:1]
	v_cndmask_b32_e32 v13, v14, v13, vcc
	v_xor_b32_e32 v14, s4, v16
	v_cndmask_b32_e32 v12, v15, v18, vcc
	v_xor_b32_e32 v13, v13, v14
	v_xor_b32_e32 v12, v12, v14
	v_sub_co_u32_e32 v42, vcc, v13, v14
	v_subb_co_u32_e32 v43, vcc, v12, v14, vcc
                                        ; implicit-def: $vgpr12
.LBB32_23:                              ;   in Loop: Header=BB32_9 Depth=1
	s_andn2_saveexec_b64 s[0:1], s[2:3]
	s_cbranch_execz .LBB32_25
; %bb.24:                               ;   in Loop: Header=BB32_9 Depth=1
	v_mul_f32_e32 v12, 0x4f7ffffe, v12
	v_cvt_u32_f32_e32 v12, v12
	s_sub_i32 s2, 0, s8
	v_mov_b32_e32 v43, v32
	v_mul_lo_u32 v13, s2, v12
	v_mul_hi_u32 v13, v12, v13
	v_add_u32_e32 v12, v12, v13
	v_mul_hi_u32 v12, v10, v12
	v_mul_lo_u32 v13, v12, s8
	v_sub_u32_e32 v13, v10, v13
	v_add_u32_e32 v14, 1, v12
	v_subrev_u32_e32 v15, s8, v13
	v_cmp_le_u32_e32 vcc, s8, v13
	v_cndmask_b32_e32 v13, v13, v15, vcc
	v_cndmask_b32_e32 v12, v12, v14, vcc
	v_add_u32_e32 v14, 1, v12
	v_cmp_le_u32_e32 vcc, s8, v13
	v_cndmask_b32_e32 v42, v12, v14, vcc
.LBB32_25:                              ;   in Loop: Header=BB32_9 Depth=1
	s_or_b64 exec, exec, s[0:1]
	v_cndmask_b32_e64 v12, 0, 1, s[48:49]
	v_cmp_ne_u32_e64 s[0:1], 1, v12
	s_andn2_b64 vcc, exec, s[48:49]
                                        ; implicit-def: $vgpr12_vgpr13_vgpr14_vgpr15_vgpr16_vgpr17_vgpr18_vgpr19
	s_cbranch_vccz .LBB32_29
; %bb.26:                               ;   in Loop: Header=BB32_9 Depth=1
	s_and_b64 vcc, exec, s[0:1]
	s_cbranch_vccz .LBB32_34
.LBB32_27:                              ;   in Loop: Header=BB32_9 Depth=1
	s_and_b64 vcc, exec, s[0:1]
	s_cbranch_vccz .LBB32_39
.LBB32_28:                              ;   in Loop: Header=BB32_9 Depth=1
	s_and_b64 vcc, exec, s[0:1]
	s_cbranch_vccnz .LBB32_8
	s_branch .LBB32_44
.LBB32_29:                              ;   in Loop: Header=BB32_9 Depth=1
	v_mad_u64_u32 v[14:15], s[2:3], s30, v36, v[24:25]
	v_mul_lo_u32 v12, s30, v37
	v_mul_lo_u32 v13, s31, v36
	v_add3_u32 v15, v13, v15, v12
	v_or_b32_e32 v33, s23, v15
	v_cmp_ne_u64_e32 vcc, 0, v[32:33]
                                        ; implicit-def: $vgpr12_vgpr13
	s_and_saveexec_b64 s[2:3], vcc
	s_xor_b64 s[6:7], exec, s[2:3]
	s_cbranch_execz .LBB32_31
; %bb.30:                               ;   in Loop: Header=BB32_9 Depth=1
	s_ashr_i32 s2, s23, 31
	s_add_u32 s4, s22, s2
	s_mov_b32 s3, s2
	s_addc_u32 s5, s23, s2
	s_xor_b64 s[52:53], s[4:5], s[2:3]
	v_cvt_f32_u32_e32 v12, s52
	v_cvt_f32_u32_e32 v13, s53
	s_sub_u32 s2, 0, s52
	s_subb_u32 s3, 0, s53
	v_mac_f32_e32 v12, 0x4f800000, v13
	v_rcp_f32_e32 v12, v12
	v_mul_f32_e32 v12, 0x5f7ffffc, v12
	v_mul_f32_e32 v13, 0x2f800000, v12
	v_trunc_f32_e32 v13, v13
	v_mac_f32_e32 v12, 0xcf800000, v13
	v_cvt_u32_f32_e32 v13, v13
	v_cvt_u32_f32_e32 v12, v12
	v_mul_lo_u32 v16, s2, v13
	v_mul_hi_u32 v18, s2, v12
	v_mul_lo_u32 v17, s3, v12
	v_add_u32_e32 v16, v18, v16
	v_mul_lo_u32 v19, s2, v12
	v_add_u32_e32 v16, v16, v17
	v_mul_lo_u32 v18, v12, v16
	v_mul_hi_u32 v33, v12, v19
	v_mul_hi_u32 v17, v12, v16
	v_add_co_u32_e32 v18, vcc, v33, v18
	v_addc_co_u32_e32 v17, vcc, 0, v17, vcc
	v_mul_hi_u32 v44, v13, v19
	v_mul_lo_u32 v19, v13, v19
	v_add_co_u32_e32 v18, vcc, v18, v19
	v_mul_hi_u32 v33, v13, v16
	v_addc_co_u32_e32 v17, vcc, v17, v44, vcc
	v_addc_co_u32_e32 v18, vcc, 0, v33, vcc
	v_mul_lo_u32 v16, v13, v16
	v_add_co_u32_e32 v16, vcc, v17, v16
	v_addc_co_u32_e32 v17, vcc, 0, v18, vcc
	v_add_co_u32_e32 v12, vcc, v12, v16
	v_addc_co_u32_e32 v13, vcc, v13, v17, vcc
	v_mul_lo_u32 v16, s2, v13
	v_mul_hi_u32 v17, s2, v12
	v_add_u32_e32 v16, v17, v16
	v_mul_lo_u32 v17, s3, v12
	v_add_u32_e32 v16, v16, v17
	v_mul_lo_u32 v18, s2, v12
	v_mul_hi_u32 v19, v13, v18
	v_mul_lo_u32 v33, v13, v18
	v_mul_lo_u32 v45, v12, v16
	v_mul_hi_u32 v18, v12, v18
	v_mul_hi_u32 v44, v12, v16
	v_add_co_u32_e32 v18, vcc, v18, v45
	v_addc_co_u32_e32 v44, vcc, 0, v44, vcc
	v_add_co_u32_e32 v18, vcc, v18, v33
	v_mul_hi_u32 v17, v13, v16
	v_addc_co_u32_e32 v18, vcc, v44, v19, vcc
	v_addc_co_u32_e32 v17, vcc, 0, v17, vcc
	v_mul_lo_u32 v16, v13, v16
	v_add_co_u32_e32 v16, vcc, v18, v16
	v_addc_co_u32_e32 v17, vcc, 0, v17, vcc
	v_add_co_u32_e32 v16, vcc, v12, v16
	v_addc_co_u32_e32 v17, vcc, v13, v17, vcc
	v_ashrrev_i32_e32 v18, 31, v15
	v_add_co_u32_e32 v12, vcc, v14, v18
	v_addc_co_u32_e32 v13, vcc, v15, v18, vcc
	v_xor_b32_e32 v33, v12, v18
	v_xor_b32_e32 v19, v13, v18
	v_mad_u64_u32 v[12:13], s[2:3], v33, v17, 0
	v_mul_hi_u32 v14, v33, v16
	v_add_co_u32_e32 v44, vcc, v14, v12
	v_addc_co_u32_e32 v45, vcc, 0, v13, vcc
	v_mad_u64_u32 v[14:15], s[2:3], v19, v16, 0
	v_add_co_u32_e32 v14, vcc, v44, v14
	v_mad_u64_u32 v[12:13], s[2:3], v19, v17, 0
	v_addc_co_u32_e32 v14, vcc, v45, v15, vcc
	v_addc_co_u32_e32 v13, vcc, 0, v13, vcc
	v_add_co_u32_e32 v12, vcc, v14, v12
	v_addc_co_u32_e32 v13, vcc, 0, v13, vcc
	v_mul_lo_u32 v14, s53, v12
	v_mul_lo_u32 v15, s52, v13
	v_mad_u64_u32 v[12:13], s[2:3], s52, v12, 0
	v_add3_u32 v13, v13, v15, v14
	v_sub_u32_e32 v14, v19, v13
	v_mov_b32_e32 v15, s53
	v_sub_co_u32_e32 v12, vcc, v33, v12
	v_subb_co_u32_e64 v14, s[2:3], v14, v15, vcc
	v_subrev_co_u32_e64 v16, s[2:3], s52, v12
	v_subbrev_co_u32_e64 v17, s[4:5], 0, v14, s[2:3]
	v_cmp_le_u32_e64 s[4:5], s53, v17
	v_cndmask_b32_e64 v33, 0, -1, s[4:5]
	v_cmp_le_u32_e64 s[4:5], s52, v16
	v_subb_co_u32_e64 v14, s[2:3], v14, v15, s[2:3]
	v_cndmask_b32_e64 v44, 0, -1, s[4:5]
	v_cmp_eq_u32_e64 s[4:5], s53, v17
	v_subrev_co_u32_e64 v15, s[2:3], s52, v16
	v_cndmask_b32_e64 v33, v33, v44, s[4:5]
	v_subbrev_co_u32_e64 v14, s[2:3], 0, v14, s[2:3]
	v_subb_co_u32_e32 v13, vcc, v19, v13, vcc
	v_cmp_ne_u32_e64 s[2:3], 0, v33
	v_cmp_le_u32_e32 vcc, s53, v13
	v_cndmask_b32_e64 v14, v17, v14, s[2:3]
	v_cndmask_b32_e64 v17, 0, -1, vcc
	v_cmp_le_u32_e32 vcc, s52, v12
	v_cndmask_b32_e64 v19, 0, -1, vcc
	v_cmp_eq_u32_e32 vcc, s53, v13
	v_cndmask_b32_e32 v17, v17, v19, vcc
	v_cmp_ne_u32_e32 vcc, 0, v17
	v_cndmask_b32_e32 v13, v13, v14, vcc
	v_cndmask_b32_e64 v14, v16, v15, s[2:3]
	v_cndmask_b32_e32 v12, v12, v14, vcc
	v_xor_b32_e32 v12, v12, v18
	v_xor_b32_e32 v13, v13, v18
	v_sub_co_u32_e32 v12, vcc, v12, v18
	v_subb_co_u32_e32 v13, vcc, v13, v18, vcc
                                        ; implicit-def: $vgpr14_vgpr15
.LBB32_31:                              ;   in Loop: Header=BB32_9 Depth=1
	s_andn2_saveexec_b64 s[2:3], s[6:7]
	s_cbranch_execz .LBB32_33
; %bb.32:                               ;   in Loop: Header=BB32_9 Depth=1
	v_cvt_f32_u32_e32 v12, s22
	s_sub_i32 s4, 0, s22
	v_rcp_iflag_f32_e32 v12, v12
	v_mul_f32_e32 v12, 0x4f7ffffe, v12
	v_cvt_u32_f32_e32 v12, v12
	v_mul_lo_u32 v13, s4, v12
	v_mul_hi_u32 v13, v12, v13
	v_add_u32_e32 v12, v12, v13
	v_mul_hi_u32 v12, v14, v12
	v_mul_lo_u32 v12, v12, s22
	v_sub_u32_e32 v12, v14, v12
	v_subrev_u32_e32 v13, s22, v12
	v_cmp_le_u32_e32 vcc, s22, v12
	v_cndmask_b32_e32 v12, v12, v13, vcc
	v_subrev_u32_e32 v13, s22, v12
	v_cmp_le_u32_e32 vcc, s22, v12
	v_cndmask_b32_e32 v12, v12, v13, vcc
	v_mov_b32_e32 v13, v32
.LBB32_33:                              ;   in Loop: Header=BB32_9 Depth=1
	s_or_b64 exec, exec, s[2:3]
                                        ; kill: def $vgpr14 killed $sgpr0 killed $exec
	s_and_b64 vcc, exec, s[0:1]
	s_cbranch_vccnz .LBB32_27
.LBB32_34:                              ;   in Loop: Header=BB32_9 Depth=1
	v_mad_u64_u32 v[44:45], s[2:3], s30, v38, v[30:31]
	v_mul_lo_u32 v14, s30, v39
	v_mul_lo_u32 v15, s31, v38
	v_add3_u32 v45, v15, v45, v14
	v_or_b32_e32 v33, s23, v45
	v_cmp_ne_u64_e32 vcc, 0, v[32:33]
                                        ; kill: def $vgpr14_vgpr15 killed $sgpr0_sgpr1 killed $exec
	s_and_saveexec_b64 s[2:3], vcc
	s_xor_b64 s[6:7], exec, s[2:3]
	s_cbranch_execz .LBB32_36
; %bb.35:                               ;   in Loop: Header=BB32_9 Depth=1
	s_ashr_i32 s2, s23, 31
	s_add_u32 s4, s22, s2
	s_mov_b32 s3, s2
	s_addc_u32 s5, s23, s2
	s_xor_b64 s[52:53], s[4:5], s[2:3]
	v_cvt_f32_u32_e32 v14, s52
	v_cvt_f32_u32_e32 v15, s53
	s_sub_u32 s2, 0, s52
	s_subb_u32 s3, 0, s53
	v_mac_f32_e32 v14, 0x4f800000, v15
	v_rcp_f32_e32 v14, v14
	v_mul_f32_e32 v14, 0x5f7ffffc, v14
	v_mul_f32_e32 v15, 0x2f800000, v14
	v_trunc_f32_e32 v15, v15
	v_mac_f32_e32 v14, 0xcf800000, v15
	v_cvt_u32_f32_e32 v15, v15
	v_cvt_u32_f32_e32 v14, v14
	v_mul_lo_u32 v33, s2, v15
	v_mul_hi_u32 v47, s2, v14
	v_mul_lo_u32 v46, s3, v14
	v_add_u32_e32 v33, v47, v33
	v_mul_lo_u32 v48, s2, v14
	v_add_u32_e32 v33, v33, v46
	v_mul_lo_u32 v47, v14, v33
	v_mul_hi_u32 v49, v14, v48
	v_mul_hi_u32 v46, v14, v33
	v_add_co_u32_e32 v47, vcc, v49, v47
	v_addc_co_u32_e32 v46, vcc, 0, v46, vcc
	v_mul_hi_u32 v50, v15, v48
	v_mul_lo_u32 v48, v15, v48
	v_add_co_u32_e32 v47, vcc, v47, v48
	v_mul_hi_u32 v49, v15, v33
	v_addc_co_u32_e32 v46, vcc, v46, v50, vcc
	v_addc_co_u32_e32 v47, vcc, 0, v49, vcc
	v_mul_lo_u32 v33, v15, v33
	v_add_co_u32_e32 v33, vcc, v46, v33
	v_addc_co_u32_e32 v46, vcc, 0, v47, vcc
	v_add_co_u32_e32 v14, vcc, v14, v33
	v_addc_co_u32_e32 v15, vcc, v15, v46, vcc
	v_mul_lo_u32 v33, s2, v15
	v_mul_hi_u32 v46, s2, v14
	v_add_u32_e32 v33, v46, v33
	v_mul_lo_u32 v46, s3, v14
	v_add_u32_e32 v33, v33, v46
	v_mul_lo_u32 v47, s2, v14
	v_mul_hi_u32 v48, v15, v47
	v_mul_lo_u32 v49, v15, v47
	v_mul_lo_u32 v51, v14, v33
	v_mul_hi_u32 v47, v14, v47
	v_mul_hi_u32 v50, v14, v33
	v_add_co_u32_e32 v47, vcc, v47, v51
	v_addc_co_u32_e32 v50, vcc, 0, v50, vcc
	v_add_co_u32_e32 v47, vcc, v47, v49
	v_mul_hi_u32 v46, v15, v33
	v_addc_co_u32_e32 v47, vcc, v50, v48, vcc
	v_addc_co_u32_e32 v46, vcc, 0, v46, vcc
	v_mul_lo_u32 v33, v15, v33
	v_add_co_u32_e32 v33, vcc, v47, v33
	v_addc_co_u32_e32 v46, vcc, 0, v46, vcc
	v_add_co_u32_e32 v33, vcc, v14, v33
	v_addc_co_u32_e32 v46, vcc, v15, v46, vcc
	v_ashrrev_i32_e32 v47, 31, v45
	v_add_co_u32_e32 v14, vcc, v44, v47
	v_addc_co_u32_e32 v15, vcc, v45, v47, vcc
	v_xor_b32_e32 v49, v14, v47
	v_xor_b32_e32 v48, v15, v47
	v_mad_u64_u32 v[14:15], s[2:3], v49, v46, 0
	v_mul_hi_u32 v44, v49, v33
	v_add_co_u32_e32 v50, vcc, v44, v14
	v_addc_co_u32_e32 v51, vcc, 0, v15, vcc
	v_mad_u64_u32 v[44:45], s[2:3], v48, v33, 0
	v_add_co_u32_e32 v33, vcc, v50, v44
	v_mad_u64_u32 v[14:15], s[2:3], v48, v46, 0
	v_addc_co_u32_e32 v33, vcc, v51, v45, vcc
	v_addc_co_u32_e32 v15, vcc, 0, v15, vcc
	v_add_co_u32_e32 v14, vcc, v33, v14
	v_addc_co_u32_e32 v15, vcc, 0, v15, vcc
	v_mul_lo_u32 v33, s53, v14
	v_mul_lo_u32 v44, s52, v15
	v_mad_u64_u32 v[14:15], s[2:3], s52, v14, 0
	v_add3_u32 v15, v15, v44, v33
	v_sub_u32_e32 v33, v48, v15
	v_mov_b32_e32 v44, s53
	v_sub_co_u32_e32 v14, vcc, v49, v14
	v_subb_co_u32_e64 v33, s[2:3], v33, v44, vcc
	v_subrev_co_u32_e64 v45, s[2:3], s52, v14
	v_subbrev_co_u32_e64 v46, s[4:5], 0, v33, s[2:3]
	v_cmp_le_u32_e64 s[4:5], s53, v46
	v_cndmask_b32_e64 v49, 0, -1, s[4:5]
	v_cmp_le_u32_e64 s[4:5], s52, v45
	v_subb_co_u32_e64 v33, s[2:3], v33, v44, s[2:3]
	v_cndmask_b32_e64 v50, 0, -1, s[4:5]
	v_cmp_eq_u32_e64 s[4:5], s53, v46
	v_subrev_co_u32_e64 v44, s[2:3], s52, v45
	v_cndmask_b32_e64 v49, v49, v50, s[4:5]
	v_subbrev_co_u32_e64 v33, s[2:3], 0, v33, s[2:3]
	v_subb_co_u32_e32 v15, vcc, v48, v15, vcc
	v_cmp_ne_u32_e64 s[2:3], 0, v49
	v_cmp_le_u32_e32 vcc, s53, v15
	v_cndmask_b32_e64 v33, v46, v33, s[2:3]
	v_cndmask_b32_e64 v46, 0, -1, vcc
	v_cmp_le_u32_e32 vcc, s52, v14
	v_cndmask_b32_e64 v48, 0, -1, vcc
	v_cmp_eq_u32_e32 vcc, s53, v15
	v_cndmask_b32_e32 v46, v46, v48, vcc
	v_cmp_ne_u32_e32 vcc, 0, v46
	v_cndmask_b32_e32 v15, v15, v33, vcc
	v_cndmask_b32_e64 v33, v45, v44, s[2:3]
	v_cndmask_b32_e32 v14, v14, v33, vcc
	v_xor_b32_e32 v14, v14, v47
	v_xor_b32_e32 v15, v15, v47
	v_sub_co_u32_e32 v14, vcc, v14, v47
	v_subb_co_u32_e32 v15, vcc, v15, v47, vcc
                                        ; implicit-def: $vgpr44_vgpr45
.LBB32_36:                              ;   in Loop: Header=BB32_9 Depth=1
	s_andn2_saveexec_b64 s[2:3], s[6:7]
	s_cbranch_execz .LBB32_38
; %bb.37:                               ;   in Loop: Header=BB32_9 Depth=1
	v_cvt_f32_u32_e32 v14, s22
	s_sub_i32 s4, 0, s22
	v_rcp_iflag_f32_e32 v14, v14
	v_mul_f32_e32 v14, 0x4f7ffffe, v14
	v_cvt_u32_f32_e32 v14, v14
	v_mul_lo_u32 v15, s4, v14
	v_mul_hi_u32 v15, v14, v15
	v_add_u32_e32 v14, v14, v15
	v_mul_hi_u32 v14, v44, v14
	v_mul_lo_u32 v14, v14, s22
	v_sub_u32_e32 v14, v44, v14
	v_subrev_u32_e32 v15, s22, v14
	v_cmp_le_u32_e32 vcc, s22, v14
	v_cndmask_b32_e32 v14, v14, v15, vcc
	v_subrev_u32_e32 v15, s22, v14
	v_cmp_le_u32_e32 vcc, s22, v14
	v_cndmask_b32_e32 v14, v14, v15, vcc
	v_mov_b32_e32 v15, v32
.LBB32_38:                              ;   in Loop: Header=BB32_9 Depth=1
	s_or_b64 exec, exec, s[2:3]
	s_and_b64 vcc, exec, s[0:1]
	s_cbranch_vccnz .LBB32_28
.LBB32_39:                              ;   in Loop: Header=BB32_9 Depth=1
	v_mad_u64_u32 v[44:45], s[2:3], s30, v40, v[28:29]
	v_mul_lo_u32 v16, s30, v41
	v_mul_lo_u32 v17, s31, v40
	v_add3_u32 v45, v17, v45, v16
	v_or_b32_e32 v33, s23, v45
	v_cmp_ne_u64_e32 vcc, 0, v[32:33]
                                        ; kill: def $vgpr16_vgpr17 killed $sgpr0_sgpr1 killed $exec
	s_and_saveexec_b64 s[2:3], vcc
	s_xor_b64 s[6:7], exec, s[2:3]
	s_cbranch_execz .LBB32_41
; %bb.40:                               ;   in Loop: Header=BB32_9 Depth=1
	s_ashr_i32 s2, s23, 31
	s_add_u32 s4, s22, s2
	s_mov_b32 s3, s2
	s_addc_u32 s5, s23, s2
	s_xor_b64 s[52:53], s[4:5], s[2:3]
	v_cvt_f32_u32_e32 v16, s52
	v_cvt_f32_u32_e32 v17, s53
	s_sub_u32 s2, 0, s52
	s_subb_u32 s3, 0, s53
	v_mac_f32_e32 v16, 0x4f800000, v17
	v_rcp_f32_e32 v16, v16
	v_mul_f32_e32 v16, 0x5f7ffffc, v16
	v_mul_f32_e32 v17, 0x2f800000, v16
	v_trunc_f32_e32 v17, v17
	v_mac_f32_e32 v16, 0xcf800000, v17
	v_cvt_u32_f32_e32 v17, v17
	v_cvt_u32_f32_e32 v16, v16
	v_mul_lo_u32 v33, s2, v17
	v_mul_hi_u32 v47, s2, v16
	v_mul_lo_u32 v46, s3, v16
	v_add_u32_e32 v33, v47, v33
	v_mul_lo_u32 v48, s2, v16
	v_add_u32_e32 v33, v33, v46
	v_mul_lo_u32 v47, v16, v33
	v_mul_hi_u32 v49, v16, v48
	v_mul_hi_u32 v46, v16, v33
	v_add_co_u32_e32 v47, vcc, v49, v47
	v_addc_co_u32_e32 v46, vcc, 0, v46, vcc
	v_mul_hi_u32 v50, v17, v48
	v_mul_lo_u32 v48, v17, v48
	v_add_co_u32_e32 v47, vcc, v47, v48
	v_mul_hi_u32 v49, v17, v33
	v_addc_co_u32_e32 v46, vcc, v46, v50, vcc
	v_addc_co_u32_e32 v47, vcc, 0, v49, vcc
	v_mul_lo_u32 v33, v17, v33
	v_add_co_u32_e32 v33, vcc, v46, v33
	v_addc_co_u32_e32 v46, vcc, 0, v47, vcc
	v_add_co_u32_e32 v16, vcc, v16, v33
	v_addc_co_u32_e32 v17, vcc, v17, v46, vcc
	v_mul_lo_u32 v33, s2, v17
	v_mul_hi_u32 v46, s2, v16
	v_add_u32_e32 v33, v46, v33
	v_mul_lo_u32 v46, s3, v16
	v_add_u32_e32 v33, v33, v46
	v_mul_lo_u32 v47, s2, v16
	v_mul_hi_u32 v48, v17, v47
	v_mul_lo_u32 v49, v17, v47
	v_mul_lo_u32 v51, v16, v33
	v_mul_hi_u32 v47, v16, v47
	v_mul_hi_u32 v50, v16, v33
	v_add_co_u32_e32 v47, vcc, v47, v51
	v_addc_co_u32_e32 v50, vcc, 0, v50, vcc
	v_add_co_u32_e32 v47, vcc, v47, v49
	v_mul_hi_u32 v46, v17, v33
	v_addc_co_u32_e32 v47, vcc, v50, v48, vcc
	v_addc_co_u32_e32 v46, vcc, 0, v46, vcc
	v_mul_lo_u32 v33, v17, v33
	v_add_co_u32_e32 v33, vcc, v47, v33
	v_addc_co_u32_e32 v46, vcc, 0, v46, vcc
	v_add_co_u32_e32 v33, vcc, v16, v33
	v_addc_co_u32_e32 v46, vcc, v17, v46, vcc
	v_ashrrev_i32_e32 v47, 31, v45
	v_add_co_u32_e32 v16, vcc, v44, v47
	v_addc_co_u32_e32 v17, vcc, v45, v47, vcc
	v_xor_b32_e32 v49, v16, v47
	v_xor_b32_e32 v48, v17, v47
	v_mad_u64_u32 v[16:17], s[2:3], v49, v46, 0
	v_mul_hi_u32 v44, v49, v33
	v_add_co_u32_e32 v50, vcc, v44, v16
	v_addc_co_u32_e32 v51, vcc, 0, v17, vcc
	v_mad_u64_u32 v[44:45], s[2:3], v48, v33, 0
	v_add_co_u32_e32 v33, vcc, v50, v44
	v_mad_u64_u32 v[16:17], s[2:3], v48, v46, 0
	v_addc_co_u32_e32 v33, vcc, v51, v45, vcc
	v_addc_co_u32_e32 v17, vcc, 0, v17, vcc
	v_add_co_u32_e32 v16, vcc, v33, v16
	v_addc_co_u32_e32 v17, vcc, 0, v17, vcc
	v_mul_lo_u32 v33, s53, v16
	v_mul_lo_u32 v44, s52, v17
	v_mad_u64_u32 v[16:17], s[2:3], s52, v16, 0
	v_add3_u32 v17, v17, v44, v33
	v_sub_u32_e32 v33, v48, v17
	v_mov_b32_e32 v44, s53
	v_sub_co_u32_e32 v16, vcc, v49, v16
	v_subb_co_u32_e64 v33, s[2:3], v33, v44, vcc
	v_subrev_co_u32_e64 v45, s[2:3], s52, v16
	v_subbrev_co_u32_e64 v46, s[4:5], 0, v33, s[2:3]
	v_cmp_le_u32_e64 s[4:5], s53, v46
	v_cndmask_b32_e64 v49, 0, -1, s[4:5]
	v_cmp_le_u32_e64 s[4:5], s52, v45
	v_subb_co_u32_e64 v33, s[2:3], v33, v44, s[2:3]
	v_cndmask_b32_e64 v50, 0, -1, s[4:5]
	v_cmp_eq_u32_e64 s[4:5], s53, v46
	v_subrev_co_u32_e64 v44, s[2:3], s52, v45
	v_cndmask_b32_e64 v49, v49, v50, s[4:5]
	v_subbrev_co_u32_e64 v33, s[2:3], 0, v33, s[2:3]
	v_subb_co_u32_e32 v17, vcc, v48, v17, vcc
	v_cmp_ne_u32_e64 s[2:3], 0, v49
	v_cmp_le_u32_e32 vcc, s53, v17
	v_cndmask_b32_e64 v33, v46, v33, s[2:3]
	v_cndmask_b32_e64 v46, 0, -1, vcc
	v_cmp_le_u32_e32 vcc, s52, v16
	v_cndmask_b32_e64 v48, 0, -1, vcc
	v_cmp_eq_u32_e32 vcc, s53, v17
	v_cndmask_b32_e32 v46, v46, v48, vcc
	v_cmp_ne_u32_e32 vcc, 0, v46
	v_cndmask_b32_e32 v17, v17, v33, vcc
	v_cndmask_b32_e64 v33, v45, v44, s[2:3]
	v_cndmask_b32_e32 v16, v16, v33, vcc
	v_xor_b32_e32 v16, v16, v47
	v_xor_b32_e32 v17, v17, v47
	v_sub_co_u32_e32 v16, vcc, v16, v47
	v_subb_co_u32_e32 v17, vcc, v17, v47, vcc
                                        ; implicit-def: $vgpr44_vgpr45
.LBB32_41:                              ;   in Loop: Header=BB32_9 Depth=1
	s_andn2_saveexec_b64 s[2:3], s[6:7]
	s_cbranch_execz .LBB32_43
; %bb.42:                               ;   in Loop: Header=BB32_9 Depth=1
	v_cvt_f32_u32_e32 v16, s22
	s_sub_i32 s4, 0, s22
	v_rcp_iflag_f32_e32 v16, v16
	v_mul_f32_e32 v16, 0x4f7ffffe, v16
	v_cvt_u32_f32_e32 v16, v16
	v_mul_lo_u32 v17, s4, v16
	v_mul_hi_u32 v17, v16, v17
	v_add_u32_e32 v16, v16, v17
	v_mul_hi_u32 v16, v44, v16
	v_mul_lo_u32 v16, v16, s22
	v_sub_u32_e32 v16, v44, v16
	v_subrev_u32_e32 v17, s22, v16
	v_cmp_le_u32_e32 vcc, s22, v16
	v_cndmask_b32_e32 v16, v16, v17, vcc
	v_subrev_u32_e32 v17, s22, v16
	v_cmp_le_u32_e32 vcc, s22, v16
	v_cndmask_b32_e32 v16, v16, v17, vcc
	v_mov_b32_e32 v17, v32
.LBB32_43:                              ;   in Loop: Header=BB32_9 Depth=1
	s_or_b64 exec, exec, s[2:3]
	s_and_b64 vcc, exec, s[0:1]
	s_cbranch_vccnz .LBB32_8
.LBB32_44:                              ;   in Loop: Header=BB32_9 Depth=1
	v_mad_u64_u32 v[44:45], s[0:1], s30, v42, v[0:1]
	v_mul_lo_u32 v18, s30, v43
	v_mul_lo_u32 v19, s31, v42
	v_add3_u32 v45, v19, v45, v18
	v_or_b32_e32 v33, s23, v45
	v_cmp_ne_u64_e32 vcc, 0, v[32:33]
                                        ; kill: def $vgpr18_vgpr19 killed $sgpr0_sgpr1 killed $exec
	s_and_saveexec_b64 s[0:1], vcc
	s_xor_b64 s[4:5], exec, s[0:1]
	s_cbranch_execz .LBB32_46
; %bb.45:                               ;   in Loop: Header=BB32_9 Depth=1
	s_ashr_i32 s0, s23, 31
	s_add_u32 s2, s22, s0
	s_mov_b32 s1, s0
	s_addc_u32 s3, s23, s0
	s_xor_b64 s[6:7], s[2:3], s[0:1]
	v_cvt_f32_u32_e32 v18, s6
	v_cvt_f32_u32_e32 v19, s7
	s_sub_u32 s0, 0, s6
	s_subb_u32 s1, 0, s7
	v_mac_f32_e32 v18, 0x4f800000, v19
	v_rcp_f32_e32 v18, v18
	v_mul_f32_e32 v18, 0x5f7ffffc, v18
	v_mul_f32_e32 v19, 0x2f800000, v18
	v_trunc_f32_e32 v19, v19
	v_mac_f32_e32 v18, 0xcf800000, v19
	v_cvt_u32_f32_e32 v19, v19
	v_cvt_u32_f32_e32 v18, v18
	v_mul_lo_u32 v33, s0, v19
	v_mul_hi_u32 v47, s0, v18
	v_mul_lo_u32 v46, s1, v18
	v_add_u32_e32 v33, v47, v33
	v_mul_lo_u32 v48, s0, v18
	v_add_u32_e32 v33, v33, v46
	v_mul_lo_u32 v47, v18, v33
	v_mul_hi_u32 v49, v18, v48
	v_mul_hi_u32 v46, v18, v33
	v_add_co_u32_e32 v47, vcc, v49, v47
	v_addc_co_u32_e32 v46, vcc, 0, v46, vcc
	v_mul_hi_u32 v50, v19, v48
	v_mul_lo_u32 v48, v19, v48
	v_add_co_u32_e32 v47, vcc, v47, v48
	v_mul_hi_u32 v49, v19, v33
	v_addc_co_u32_e32 v46, vcc, v46, v50, vcc
	v_addc_co_u32_e32 v47, vcc, 0, v49, vcc
	v_mul_lo_u32 v33, v19, v33
	v_add_co_u32_e32 v33, vcc, v46, v33
	v_addc_co_u32_e32 v46, vcc, 0, v47, vcc
	v_add_co_u32_e32 v18, vcc, v18, v33
	v_addc_co_u32_e32 v19, vcc, v19, v46, vcc
	v_mul_lo_u32 v33, s0, v19
	v_mul_hi_u32 v46, s0, v18
	v_add_u32_e32 v33, v46, v33
	v_mul_lo_u32 v46, s1, v18
	v_add_u32_e32 v33, v33, v46
	v_mul_lo_u32 v47, s0, v18
	v_mul_hi_u32 v48, v19, v47
	v_mul_lo_u32 v49, v19, v47
	v_mul_lo_u32 v51, v18, v33
	v_mul_hi_u32 v47, v18, v47
	v_mul_hi_u32 v50, v18, v33
	v_add_co_u32_e32 v47, vcc, v47, v51
	v_addc_co_u32_e32 v50, vcc, 0, v50, vcc
	v_add_co_u32_e32 v47, vcc, v47, v49
	v_mul_hi_u32 v46, v19, v33
	v_addc_co_u32_e32 v47, vcc, v50, v48, vcc
	v_addc_co_u32_e32 v46, vcc, 0, v46, vcc
	v_mul_lo_u32 v33, v19, v33
	v_add_co_u32_e32 v33, vcc, v47, v33
	v_addc_co_u32_e32 v46, vcc, 0, v46, vcc
	v_add_co_u32_e32 v33, vcc, v18, v33
	v_addc_co_u32_e32 v46, vcc, v19, v46, vcc
	v_ashrrev_i32_e32 v47, 31, v45
	v_add_co_u32_e32 v18, vcc, v44, v47
	v_addc_co_u32_e32 v19, vcc, v45, v47, vcc
	v_xor_b32_e32 v49, v18, v47
	v_xor_b32_e32 v48, v19, v47
	v_mad_u64_u32 v[18:19], s[0:1], v49, v46, 0
	v_mul_hi_u32 v44, v49, v33
	v_add_co_u32_e32 v50, vcc, v44, v18
	v_addc_co_u32_e32 v51, vcc, 0, v19, vcc
	v_mad_u64_u32 v[44:45], s[0:1], v48, v33, 0
	v_add_co_u32_e32 v33, vcc, v50, v44
	v_mad_u64_u32 v[18:19], s[0:1], v48, v46, 0
	v_addc_co_u32_e32 v33, vcc, v51, v45, vcc
	v_addc_co_u32_e32 v19, vcc, 0, v19, vcc
	v_add_co_u32_e32 v18, vcc, v33, v18
	v_addc_co_u32_e32 v19, vcc, 0, v19, vcc
	v_mul_lo_u32 v33, s7, v18
	v_mul_lo_u32 v44, s6, v19
	v_mad_u64_u32 v[18:19], s[0:1], s6, v18, 0
	v_add3_u32 v19, v19, v44, v33
	v_sub_u32_e32 v33, v48, v19
	v_mov_b32_e32 v44, s7
	v_sub_co_u32_e32 v18, vcc, v49, v18
	v_subb_co_u32_e64 v33, s[0:1], v33, v44, vcc
	v_subrev_co_u32_e64 v45, s[0:1], s6, v18
	v_subbrev_co_u32_e64 v46, s[2:3], 0, v33, s[0:1]
	v_cmp_le_u32_e64 s[2:3], s7, v46
	v_cndmask_b32_e64 v49, 0, -1, s[2:3]
	v_cmp_le_u32_e64 s[2:3], s6, v45
	v_subb_co_u32_e64 v33, s[0:1], v33, v44, s[0:1]
	v_cndmask_b32_e64 v50, 0, -1, s[2:3]
	v_cmp_eq_u32_e64 s[2:3], s7, v46
	v_subrev_co_u32_e64 v44, s[0:1], s6, v45
	v_cndmask_b32_e64 v49, v49, v50, s[2:3]
	v_subbrev_co_u32_e64 v33, s[0:1], 0, v33, s[0:1]
	v_subb_co_u32_e32 v19, vcc, v48, v19, vcc
	v_cmp_ne_u32_e64 s[0:1], 0, v49
	v_cmp_le_u32_e32 vcc, s7, v19
	v_cndmask_b32_e64 v33, v46, v33, s[0:1]
	v_cndmask_b32_e64 v46, 0, -1, vcc
	v_cmp_le_u32_e32 vcc, s6, v18
	v_cndmask_b32_e64 v48, 0, -1, vcc
	v_cmp_eq_u32_e32 vcc, s7, v19
	v_cndmask_b32_e32 v46, v46, v48, vcc
	v_cmp_ne_u32_e32 vcc, 0, v46
	v_cndmask_b32_e32 v19, v19, v33, vcc
	v_cndmask_b32_e64 v33, v45, v44, s[0:1]
	v_cndmask_b32_e32 v18, v18, v33, vcc
	v_xor_b32_e32 v18, v18, v47
	v_xor_b32_e32 v19, v19, v47
	v_sub_co_u32_e32 v18, vcc, v18, v47
	v_subb_co_u32_e32 v19, vcc, v19, v47, vcc
                                        ; implicit-def: $vgpr44_vgpr45
.LBB32_46:                              ;   in Loop: Header=BB32_9 Depth=1
	s_andn2_saveexec_b64 s[0:1], s[4:5]
	s_cbranch_execz .LBB32_7
; %bb.47:                               ;   in Loop: Header=BB32_9 Depth=1
	v_cvt_f32_u32_e32 v18, s22
	s_sub_i32 s2, 0, s22
	v_rcp_iflag_f32_e32 v18, v18
	v_mul_f32_e32 v18, 0x4f7ffffe, v18
	v_cvt_u32_f32_e32 v18, v18
	v_mul_lo_u32 v19, s2, v18
	v_mul_hi_u32 v19, v18, v19
	v_add_u32_e32 v18, v18, v19
	v_mul_hi_u32 v18, v44, v18
	v_mul_lo_u32 v18, v18, s22
	v_sub_u32_e32 v18, v44, v18
	v_subrev_u32_e32 v19, s22, v18
	v_cmp_le_u32_e32 vcc, s22, v18
	v_cndmask_b32_e32 v18, v18, v19, vcc
	v_subrev_u32_e32 v19, s22, v18
	v_cmp_le_u32_e32 vcc, s22, v18
	v_cndmask_b32_e32 v18, v18, v19, vcc
	v_mov_b32_e32 v19, v32
	s_branch .LBB32_7
.LBB32_48:
	s_or_b64 exec, exec, s[46:47]
	v_mad_u64_u32 v[2:3], s[0:1], v22, s20, v[2:3]
	v_mul_lo_u32 v0, v22, s21
	v_mul_lo_u32 v1, v23, s20
	v_cmp_ne_u64_e32 vcc, v[20:21], v[22:23]
	v_add3_u32 v3, v1, v3, v0
	s_and_b64 s[0:1], vcc, exec
.LBB32_49:
	s_or_saveexec_b64 s[2:3], s[26:27]
	v_pk_mov_b32 v[0:1], s[30:31], s[30:31] op_sel:[0,1]
	v_pk_mov_b32 v[4:5], s[36:37], s[36:37] op_sel:[0,1]
	s_xor_b64 exec, exec, s[2:3]
; %bb.50:
	s_sub_u32 s4, 0, s8
	s_subb_u32 s5, 0, s9
	s_lshl_b64 s[6:7], s[20:21], 1
	v_pk_mov_b32 v[0:1], s[4:5], s[4:5] op_sel:[0,1]
	v_pk_mov_b32 v[4:5], s[6:7], s[6:7] op_sel:[0,1]
	s_or_b64 s[0:1], s[0:1], exec
; %bb.51:
	s_or_b64 exec, exec, s[2:3]
	s_and_b64 exec, exec, s[0:1]
	s_cbranch_execz .LBB32_64
; %bb.52:
	v_lshlrev_b64 v[6:7], 1, v[2:3]
	s_sub_u32 s26, 0, s18
	v_mov_b32_e32 v8, s15
	v_add_co_u32_e32 v6, vcc, s14, v6
	s_mov_b64 s[4:5], 0
	s_subb_u32 s27, 0, s19
	v_addc_co_u32_e32 v7, vcc, v8, v7, vcc
	v_mov_b32_e32 v8, 0
	s_ashr_i32 s6, s9, 31
	s_sub_i32 s28, 0, s8
	s_branch .LBB32_55
.LBB32_53:                              ;   in Loop: Header=BB32_55 Depth=1
	s_or_b64 exec, exec, s[0:1]
	v_ashrrev_i32_e32 v9, 31, v15
	v_and_b32_e32 v13, s23, v9
	v_and_b32_e32 v9, s22, v9
	v_add_co_u32_e32 v12, vcc, v9, v14
	v_addc_co_u32_e32 v13, vcc, v13, v15, vcc
	v_mov_b32_e32 v9, s23
	v_sub_co_u32_e32 v14, vcc, s22, v12
	v_subb_co_u32_e32 v9, vcc, v9, v13, vcc
	v_cmp_gt_i64_e32 vcc, s[16:17], v[12:13]
	v_cndmask_b32_e32 v13, v9, v13, vcc
	v_cndmask_b32_e32 v12, v14, v12, vcc
.LBB32_54:                              ;   in Loop: Header=BB32_55 Depth=1
	v_mul_lo_u32 v9, v11, s16
	v_mul_lo_u32 v14, v10, s17
	v_mad_u64_u32 v[10:11], s[0:1], v10, s16, 0
	v_add3_u32 v11, v11, v14, v9
	v_lshlrev_b64 v[10:11], 1, v[10:11]
	v_mov_b32_e32 v9, s13
	v_add_co_u32_e32 v14, vcc, s12, v10
	v_addc_co_u32_e32 v9, vcc, v9, v11, vcc
	v_lshlrev_b64 v[10:11], 1, v[12:13]
	v_add_co_u32_e32 v10, vcc, v14, v10
	v_addc_co_u32_e32 v11, vcc, v9, v11, vcc
	global_load_ushort v9, v[10:11], off
	v_mov_b32_e32 v10, s21
	v_add_co_u32_e32 v2, vcc, s20, v2
	v_addc_co_u32_e32 v3, vcc, v3, v10, vcc
	v_cmp_le_i64_e32 vcc, s[10:11], v[2:3]
	s_or_b64 s[4:5], vcc, s[4:5]
	s_waitcnt vmcnt(0)
	global_store_short v[6:7], v9, off
	v_add_co_u32_e32 v6, vcc, v6, v4
	v_addc_co_u32_e32 v7, vcc, v7, v5, vcc
	s_andn2_b64 exec, exec, s[4:5]
	s_cbranch_execz .LBB32_64
.LBB32_55:                              ; =>This Inner Loop Header: Depth=1
	v_or_b32_e32 v9, s9, v3
	v_cmp_ne_u64_e32 vcc, 0, v[8:9]
                                        ; implicit-def: $vgpr10_vgpr11
	s_and_saveexec_b64 s[0:1], vcc
	s_xor_b64 s[2:3], exec, s[0:1]
	s_cbranch_execnz .LBB32_58
; %bb.56:                               ;   in Loop: Header=BB32_55 Depth=1
	s_andn2_saveexec_b64 s[0:1], s[2:3]
	s_cbranch_execnz .LBB32_59
.LBB32_57:                              ;   in Loop: Header=BB32_55 Depth=1
	s_or_b64 exec, exec, s[0:1]
	s_andn2_b64 vcc, exec, s[24:25]
	v_pk_mov_b32 v[12:13], 0, 0
	s_cbranch_vccnz .LBB32_54
	s_branch .LBB32_60
.LBB32_58:                              ;   in Loop: Header=BB32_55 Depth=1
	s_add_u32 s0, s8, s6
	s_mov_b32 s7, s6
	s_addc_u32 s1, s9, s6
	s_xor_b64 s[14:15], s[0:1], s[6:7]
	v_cvt_f32_u32_e32 v9, s14
	v_cvt_f32_u32_e32 v10, s15
	s_sub_u32 s0, 0, s14
	s_subb_u32 s1, 0, s15
	v_mac_f32_e32 v9, 0x4f800000, v10
	v_rcp_f32_e32 v9, v9
	v_mul_f32_e32 v9, 0x5f7ffffc, v9
	v_mul_f32_e32 v10, 0x2f800000, v9
	v_trunc_f32_e32 v10, v10
	v_mac_f32_e32 v9, 0xcf800000, v10
	v_cvt_u32_f32_e32 v10, v10
	v_cvt_u32_f32_e32 v9, v9
	v_mul_lo_u32 v11, s0, v10
	v_mul_hi_u32 v13, s0, v9
	v_mul_lo_u32 v12, s1, v9
	v_add_u32_e32 v11, v13, v11
	v_mul_lo_u32 v14, s0, v9
	v_add_u32_e32 v11, v11, v12
	v_mul_lo_u32 v13, v9, v11
	v_mul_hi_u32 v15, v9, v14
	v_mul_hi_u32 v12, v9, v11
	v_add_co_u32_e32 v13, vcc, v15, v13
	v_addc_co_u32_e32 v12, vcc, 0, v12, vcc
	v_mul_hi_u32 v16, v10, v14
	v_mul_lo_u32 v14, v10, v14
	v_add_co_u32_e32 v13, vcc, v13, v14
	v_mul_hi_u32 v15, v10, v11
	v_addc_co_u32_e32 v12, vcc, v12, v16, vcc
	v_addc_co_u32_e32 v13, vcc, 0, v15, vcc
	v_mul_lo_u32 v11, v10, v11
	v_add_co_u32_e32 v11, vcc, v12, v11
	v_addc_co_u32_e32 v12, vcc, 0, v13, vcc
	v_add_co_u32_e32 v9, vcc, v9, v11
	v_addc_co_u32_e32 v10, vcc, v10, v12, vcc
	v_mul_lo_u32 v11, s0, v10
	v_mul_hi_u32 v12, s0, v9
	v_add_u32_e32 v11, v12, v11
	v_mul_lo_u32 v12, s1, v9
	v_add_u32_e32 v11, v11, v12
	v_mul_lo_u32 v13, s0, v9
	v_mul_hi_u32 v14, v10, v13
	v_mul_lo_u32 v15, v10, v13
	v_mul_lo_u32 v17, v9, v11
	v_mul_hi_u32 v13, v9, v13
	v_mul_hi_u32 v16, v9, v11
	v_add_co_u32_e32 v13, vcc, v13, v17
	v_addc_co_u32_e32 v16, vcc, 0, v16, vcc
	v_add_co_u32_e32 v13, vcc, v13, v15
	v_mul_hi_u32 v12, v10, v11
	v_addc_co_u32_e32 v13, vcc, v16, v14, vcc
	v_addc_co_u32_e32 v12, vcc, 0, v12, vcc
	v_mul_lo_u32 v11, v10, v11
	v_add_co_u32_e32 v11, vcc, v13, v11
	v_addc_co_u32_e32 v12, vcc, 0, v12, vcc
	v_add_co_u32_e32 v9, vcc, v9, v11
	v_addc_co_u32_e32 v12, vcc, v10, v12, vcc
	v_ashrrev_i32_e32 v14, 31, v3
	v_add_co_u32_e32 v10, vcc, v2, v14
	v_addc_co_u32_e32 v11, vcc, v3, v14, vcc
	v_xor_b32_e32 v16, v10, v14
	v_xor_b32_e32 v15, v11, v14
	v_mad_u64_u32 v[10:11], s[0:1], v16, v12, 0
	v_mul_hi_u32 v13, v16, v9
	v_add_co_u32_e32 v17, vcc, v13, v10
	v_addc_co_u32_e32 v18, vcc, 0, v11, vcc
	v_mad_u64_u32 v[10:11], s[0:1], v15, v12, 0
	v_mad_u64_u32 v[12:13], s[0:1], v15, v9, 0
	v_add_co_u32_e32 v9, vcc, v17, v12
	v_addc_co_u32_e32 v9, vcc, v18, v13, vcc
	v_addc_co_u32_e32 v11, vcc, 0, v11, vcc
	v_add_co_u32_e32 v9, vcc, v9, v10
	v_addc_co_u32_e32 v12, vcc, 0, v11, vcc
	v_mul_lo_u32 v13, s15, v9
	v_mul_lo_u32 v17, s14, v12
	v_mad_u64_u32 v[10:11], s[0:1], s14, v9, 0
	v_add3_u32 v11, v11, v17, v13
	v_sub_u32_e32 v13, v15, v11
	v_mov_b32_e32 v17, s15
	v_sub_co_u32_e32 v10, vcc, v16, v10
	v_subb_co_u32_e64 v13, s[0:1], v13, v17, vcc
	v_subrev_co_u32_e64 v16, s[0:1], s14, v10
	v_subbrev_co_u32_e64 v13, s[0:1], 0, v13, s[0:1]
	v_cmp_le_u32_e64 s[0:1], s15, v13
	v_cndmask_b32_e64 v17, 0, -1, s[0:1]
	v_cmp_le_u32_e64 s[0:1], s14, v16
	v_cndmask_b32_e64 v16, 0, -1, s[0:1]
	v_cmp_eq_u32_e64 s[0:1], s15, v13
	v_cndmask_b32_e64 v13, v17, v16, s[0:1]
	v_add_co_u32_e64 v16, s[0:1], 2, v9
	v_subb_co_u32_e32 v11, vcc, v15, v11, vcc
	v_addc_co_u32_e64 v17, s[0:1], 0, v12, s[0:1]
	v_cmp_le_u32_e32 vcc, s15, v11
	v_add_co_u32_e64 v18, s[0:1], 1, v9
	v_cndmask_b32_e64 v15, 0, -1, vcc
	v_cmp_le_u32_e32 vcc, s14, v10
	v_addc_co_u32_e64 v19, s[0:1], 0, v12, s[0:1]
	v_cndmask_b32_e64 v10, 0, -1, vcc
	v_cmp_eq_u32_e32 vcc, s15, v11
	v_cmp_ne_u32_e64 s[0:1], 0, v13
	v_cndmask_b32_e32 v10, v15, v10, vcc
	v_cmp_ne_u32_e32 vcc, 0, v10
	v_cndmask_b32_e64 v11, v18, v16, s[0:1]
	v_cndmask_b32_e64 v13, v19, v17, s[0:1]
	v_cndmask_b32_e32 v9, v9, v11, vcc
	v_xor_b32_e32 v11, s6, v14
	v_cndmask_b32_e32 v10, v12, v13, vcc
	v_xor_b32_e32 v9, v9, v11
	v_xor_b32_e32 v12, v10, v11
	v_sub_co_u32_e32 v10, vcc, v9, v11
	v_subb_co_u32_e32 v11, vcc, v12, v11, vcc
	s_andn2_saveexec_b64 s[0:1], s[2:3]
	s_cbranch_execz .LBB32_57
.LBB32_59:                              ;   in Loop: Header=BB32_55 Depth=1
	v_cvt_f32_u32_e32 v9, s8
	v_rcp_iflag_f32_e32 v9, v9
	v_mul_f32_e32 v9, 0x4f7ffffe, v9
	v_cvt_u32_f32_e32 v9, v9
	v_mul_lo_u32 v10, s28, v9
	v_mul_hi_u32 v10, v9, v10
	v_add_u32_e32 v9, v9, v10
	v_mul_hi_u32 v9, v2, v9
	v_mul_lo_u32 v10, v9, s8
	v_sub_u32_e32 v10, v2, v10
	v_add_u32_e32 v11, 1, v9
	v_subrev_u32_e32 v12, s8, v10
	v_cmp_le_u32_e32 vcc, s8, v10
	v_cndmask_b32_e32 v10, v10, v12, vcc
	v_cndmask_b32_e32 v9, v9, v11, vcc
	v_add_u32_e32 v11, 1, v9
	v_cmp_le_u32_e32 vcc, s8, v10
	v_cndmask_b32_e32 v10, v9, v11, vcc
	v_mov_b32_e32 v11, v8
	s_or_b64 exec, exec, s[0:1]
	s_andn2_b64 vcc, exec, s[24:25]
	v_pk_mov_b32 v[12:13], 0, 0
	s_cbranch_vccnz .LBB32_54
.LBB32_60:                              ;   in Loop: Header=BB32_55 Depth=1
	v_mov_b32_e32 v9, s27
	v_add_co_u32_e32 v12, vcc, s26, v2
	v_addc_co_u32_e32 v13, vcc, v9, v3, vcc
	v_mul_lo_u32 v9, v0, v11
	v_mul_lo_u32 v14, v1, v10
	v_mad_u64_u32 v[12:13], s[0:1], v0, v10, v[12:13]
	v_add3_u32 v13, v14, v13, v9
	v_or_b32_e32 v9, s23, v13
	v_cmp_ne_u64_e32 vcc, 0, v[8:9]
                                        ; implicit-def: $vgpr14_vgpr15
	s_and_saveexec_b64 s[0:1], vcc
	s_xor_b64 s[14:15], exec, s[0:1]
	s_cbranch_execz .LBB32_62
; %bb.61:                               ;   in Loop: Header=BB32_55 Depth=1
	s_ashr_i32 s0, s23, 31
	s_add_u32 s2, s22, s0
	s_mov_b32 s1, s0
	s_addc_u32 s3, s23, s0
	s_xor_b64 s[18:19], s[2:3], s[0:1]
	v_cvt_f32_u32_e32 v9, s18
	v_cvt_f32_u32_e32 v14, s19
	s_sub_u32 s0, 0, s18
	s_subb_u32 s1, 0, s19
	v_mac_f32_e32 v9, 0x4f800000, v14
	v_rcp_f32_e32 v9, v9
	v_mul_f32_e32 v9, 0x5f7ffffc, v9
	v_mul_f32_e32 v14, 0x2f800000, v9
	v_trunc_f32_e32 v14, v14
	v_mac_f32_e32 v9, 0xcf800000, v14
	v_cvt_u32_f32_e32 v14, v14
	v_cvt_u32_f32_e32 v9, v9
	v_mul_lo_u32 v15, s0, v14
	v_mul_hi_u32 v17, s0, v9
	v_mul_lo_u32 v16, s1, v9
	v_add_u32_e32 v15, v17, v15
	v_mul_lo_u32 v18, s0, v9
	v_add_u32_e32 v15, v15, v16
	v_mul_lo_u32 v17, v9, v15
	v_mul_hi_u32 v19, v9, v18
	v_mul_hi_u32 v16, v9, v15
	v_add_co_u32_e32 v17, vcc, v19, v17
	v_addc_co_u32_e32 v16, vcc, 0, v16, vcc
	v_mul_hi_u32 v20, v14, v18
	v_mul_lo_u32 v18, v14, v18
	v_add_co_u32_e32 v17, vcc, v17, v18
	v_mul_hi_u32 v19, v14, v15
	v_addc_co_u32_e32 v16, vcc, v16, v20, vcc
	v_addc_co_u32_e32 v17, vcc, 0, v19, vcc
	v_mul_lo_u32 v15, v14, v15
	v_add_co_u32_e32 v15, vcc, v16, v15
	v_addc_co_u32_e32 v16, vcc, 0, v17, vcc
	v_add_co_u32_e32 v9, vcc, v9, v15
	v_addc_co_u32_e32 v14, vcc, v14, v16, vcc
	v_mul_lo_u32 v15, s0, v14
	v_mul_hi_u32 v16, s0, v9
	v_add_u32_e32 v15, v16, v15
	v_mul_lo_u32 v16, s1, v9
	v_add_u32_e32 v15, v15, v16
	v_mul_lo_u32 v17, s0, v9
	v_mul_hi_u32 v18, v14, v17
	v_mul_lo_u32 v19, v14, v17
	v_mul_lo_u32 v21, v9, v15
	v_mul_hi_u32 v17, v9, v17
	v_mul_hi_u32 v20, v9, v15
	v_add_co_u32_e32 v17, vcc, v17, v21
	v_addc_co_u32_e32 v20, vcc, 0, v20, vcc
	v_add_co_u32_e32 v17, vcc, v17, v19
	v_mul_hi_u32 v16, v14, v15
	v_addc_co_u32_e32 v17, vcc, v20, v18, vcc
	v_addc_co_u32_e32 v16, vcc, 0, v16, vcc
	v_mul_lo_u32 v15, v14, v15
	v_add_co_u32_e32 v15, vcc, v17, v15
	v_addc_co_u32_e32 v16, vcc, 0, v16, vcc
	v_add_co_u32_e32 v9, vcc, v9, v15
	v_addc_co_u32_e32 v14, vcc, v14, v16, vcc
	v_ashrrev_i32_e32 v16, 31, v13
	v_add_co_u32_e32 v12, vcc, v12, v16
	v_addc_co_u32_e32 v13, vcc, v13, v16, vcc
	v_xor_b32_e32 v18, v12, v16
	v_xor_b32_e32 v17, v13, v16
	v_mad_u64_u32 v[12:13], s[0:1], v18, v14, 0
	v_mul_hi_u32 v15, v18, v9
	v_add_co_u32_e32 v19, vcc, v15, v12
	v_addc_co_u32_e32 v20, vcc, 0, v13, vcc
	v_mad_u64_u32 v[12:13], s[0:1], v17, v14, 0
	v_mad_u64_u32 v[14:15], s[0:1], v17, v9, 0
	v_add_co_u32_e32 v9, vcc, v19, v14
	v_addc_co_u32_e32 v9, vcc, v20, v15, vcc
	v_addc_co_u32_e32 v13, vcc, 0, v13, vcc
	v_add_co_u32_e32 v9, vcc, v9, v12
	v_addc_co_u32_e32 v12, vcc, 0, v13, vcc
	v_mul_lo_u32 v14, s19, v9
	v_mul_lo_u32 v15, s18, v12
	v_mad_u64_u32 v[12:13], s[0:1], s18, v9, 0
	v_add3_u32 v9, v13, v15, v14
	v_sub_u32_e32 v13, v17, v9
	v_mov_b32_e32 v14, s19
	v_sub_co_u32_e32 v12, vcc, v18, v12
	v_subb_co_u32_e64 v13, s[0:1], v13, v14, vcc
	v_subrev_co_u32_e64 v15, s[0:1], s18, v12
	v_subbrev_co_u32_e64 v18, s[2:3], 0, v13, s[0:1]
	v_cmp_le_u32_e64 s[2:3], s19, v18
	v_cndmask_b32_e64 v19, 0, -1, s[2:3]
	v_cmp_le_u32_e64 s[2:3], s18, v15
	v_subb_co_u32_e64 v13, s[0:1], v13, v14, s[0:1]
	v_cndmask_b32_e64 v20, 0, -1, s[2:3]
	v_cmp_eq_u32_e64 s[2:3], s19, v18
	v_subrev_co_u32_e64 v14, s[0:1], s18, v15
	v_subb_co_u32_e32 v9, vcc, v17, v9, vcc
	v_cndmask_b32_e64 v19, v19, v20, s[2:3]
	v_subbrev_co_u32_e64 v13, s[0:1], 0, v13, s[0:1]
	v_cmp_le_u32_e32 vcc, s19, v9
	v_cmp_ne_u32_e64 s[0:1], 0, v19
	v_cndmask_b32_e64 v17, 0, -1, vcc
	v_cmp_le_u32_e32 vcc, s18, v12
	v_cndmask_b32_e64 v13, v18, v13, s[0:1]
	v_cndmask_b32_e64 v18, 0, -1, vcc
	v_cmp_eq_u32_e32 vcc, s19, v9
	v_cndmask_b32_e32 v17, v17, v18, vcc
	v_cmp_ne_u32_e32 vcc, 0, v17
	v_cndmask_b32_e32 v9, v9, v13, vcc
	v_cndmask_b32_e64 v13, v15, v14, s[0:1]
	v_cndmask_b32_e32 v12, v12, v13, vcc
	v_xor_b32_e32 v12, v12, v16
	v_xor_b32_e32 v9, v9, v16
	v_sub_co_u32_e32 v14, vcc, v12, v16
	v_subb_co_u32_e32 v15, vcc, v9, v16, vcc
                                        ; implicit-def: $vgpr12_vgpr13
.LBB32_62:                              ;   in Loop: Header=BB32_55 Depth=1
	s_andn2_saveexec_b64 s[0:1], s[14:15]
	s_cbranch_execz .LBB32_53
; %bb.63:                               ;   in Loop: Header=BB32_55 Depth=1
	v_cvt_f32_u32_e32 v9, s22
	s_sub_i32 s2, 0, s22
	v_mov_b32_e32 v15, v8
	v_rcp_iflag_f32_e32 v9, v9
	v_mul_f32_e32 v9, 0x4f7ffffe, v9
	v_cvt_u32_f32_e32 v9, v9
	v_mul_lo_u32 v13, s2, v9
	v_mul_hi_u32 v13, v9, v13
	v_add_u32_e32 v9, v9, v13
	v_mul_hi_u32 v9, v12, v9
	v_mul_lo_u32 v9, v9, s22
	v_sub_u32_e32 v9, v12, v9
	v_subrev_u32_e32 v12, s22, v9
	v_cmp_le_u32_e32 vcc, s22, v9
	v_cndmask_b32_e32 v9, v9, v12, vcc
	v_subrev_u32_e32 v12, s22, v9
	v_cmp_le_u32_e32 vcc, s22, v9
	v_cndmask_b32_e32 v14, v9, v12, vcc
	s_branch .LBB32_53
.LBB32_64:
	s_endpgm
	.section	.rodata,"a",@progbits
	.p2align	6, 0x0
	.amdhsa_kernel _ZN2at6native12_GLOBAL__N_121reflection_pad1d_flatIsEEvPKT_PS3_lllll
		.amdhsa_group_segment_fixed_size 0
		.amdhsa_private_segment_fixed_size 0
		.amdhsa_kernarg_size 312
		.amdhsa_user_sgpr_count 6
		.amdhsa_user_sgpr_private_segment_buffer 1
		.amdhsa_user_sgpr_dispatch_ptr 0
		.amdhsa_user_sgpr_queue_ptr 0
		.amdhsa_user_sgpr_kernarg_segment_ptr 1
		.amdhsa_user_sgpr_dispatch_id 0
		.amdhsa_user_sgpr_flat_scratch_init 0
		.amdhsa_user_sgpr_kernarg_preload_length 0
		.amdhsa_user_sgpr_kernarg_preload_offset 0
		.amdhsa_user_sgpr_private_segment_size 0
		.amdhsa_uses_dynamic_stack 0
		.amdhsa_system_sgpr_private_segment_wavefront_offset 0
		.amdhsa_system_sgpr_workgroup_id_x 1
		.amdhsa_system_sgpr_workgroup_id_y 0
		.amdhsa_system_sgpr_workgroup_id_z 0
		.amdhsa_system_sgpr_workgroup_info 0
		.amdhsa_system_vgpr_workitem_id 0
		.amdhsa_next_free_vgpr 52
		.amdhsa_next_free_sgpr 67
		.amdhsa_accum_offset 52
		.amdhsa_reserve_vcc 1
		.amdhsa_reserve_flat_scratch 0
		.amdhsa_float_round_mode_32 0
		.amdhsa_float_round_mode_16_64 0
		.amdhsa_float_denorm_mode_32 3
		.amdhsa_float_denorm_mode_16_64 3
		.amdhsa_dx10_clamp 1
		.amdhsa_ieee_mode 1
		.amdhsa_fp16_overflow 0
		.amdhsa_tg_split 0
		.amdhsa_exception_fp_ieee_invalid_op 0
		.amdhsa_exception_fp_denorm_src 0
		.amdhsa_exception_fp_ieee_div_zero 0
		.amdhsa_exception_fp_ieee_overflow 0
		.amdhsa_exception_fp_ieee_underflow 0
		.amdhsa_exception_fp_ieee_inexact 0
		.amdhsa_exception_int_div_zero 0
	.end_amdhsa_kernel
	.section	.text._ZN2at6native12_GLOBAL__N_121reflection_pad1d_flatIsEEvPKT_PS3_lllll,"axG",@progbits,_ZN2at6native12_GLOBAL__N_121reflection_pad1d_flatIsEEvPKT_PS3_lllll,comdat
.Lfunc_end32:
	.size	_ZN2at6native12_GLOBAL__N_121reflection_pad1d_flatIsEEvPKT_PS3_lllll, .Lfunc_end32-_ZN2at6native12_GLOBAL__N_121reflection_pad1d_flatIsEEvPKT_PS3_lllll
                                        ; -- End function
	.section	.AMDGPU.csdata,"",@progbits
; Kernel info:
; codeLenInByte = 10628
; NumSgprs: 71
; NumVgprs: 52
; NumAgprs: 0
; TotalNumVgprs: 52
; ScratchSize: 0
; MemoryBound: 0
; FloatMode: 240
; IeeeMode: 1
; LDSByteSize: 0 bytes/workgroup (compile time only)
; SGPRBlocks: 8
; VGPRBlocks: 6
; NumSGPRsForWavesPerEU: 71
; NumVGPRsForWavesPerEU: 52
; AccumOffset: 52
; Occupancy: 8
; WaveLimiterHint : 0
; COMPUTE_PGM_RSRC2:SCRATCH_EN: 0
; COMPUTE_PGM_RSRC2:USER_SGPR: 6
; COMPUTE_PGM_RSRC2:TRAP_HANDLER: 0
; COMPUTE_PGM_RSRC2:TGID_X_EN: 1
; COMPUTE_PGM_RSRC2:TGID_Y_EN: 0
; COMPUTE_PGM_RSRC2:TGID_Z_EN: 0
; COMPUTE_PGM_RSRC2:TIDIG_COMP_CNT: 0
; COMPUTE_PGM_RSRC3_GFX90A:ACCUM_OFFSET: 12
; COMPUTE_PGM_RSRC3_GFX90A:TG_SPLIT: 0
	.section	.text._ZN2at6native12_GLOBAL__N_127reflection_pad1d_out_kernelIdEEvPKT_PS3_lll,"axG",@progbits,_ZN2at6native12_GLOBAL__N_127reflection_pad1d_out_kernelIdEEvPKT_PS3_lll,comdat
	.globl	_ZN2at6native12_GLOBAL__N_127reflection_pad1d_out_kernelIdEEvPKT_PS3_lll ; -- Begin function _ZN2at6native12_GLOBAL__N_127reflection_pad1d_out_kernelIdEEvPKT_PS3_lll
	.p2align	8
	.type	_ZN2at6native12_GLOBAL__N_127reflection_pad1d_out_kernelIdEEvPKT_PS3_lll,@function
_ZN2at6native12_GLOBAL__N_127reflection_pad1d_out_kernelIdEEvPKT_PS3_lll: ; @_ZN2at6native12_GLOBAL__N_127reflection_pad1d_out_kernelIdEEvPKT_PS3_lll
; %bb.0:
	s_load_dword s9, s[4:5], 0x34
	s_load_dwordx2 s[0:1], s[4:5], 0x20
	s_load_dwordx8 s[12:19], s[4:5], 0x0
	s_add_u32 s2, s4, 40
	s_addc_u32 s3, s5, 0
	s_waitcnt lgkmcnt(0)
	s_and_b32 s4, s9, 0xffff
	v_mov_b32_e32 v1, 0
	v_mov_b32_e32 v2, s6
	v_mad_u64_u32 v[0:1], s[4:5], s4, v2, v[0:1]
	s_add_u32 s4, s18, s16
	s_addc_u32 s5, s19, s17
	s_add_u32 s0, s4, s0
	s_addc_u32 s1, s5, s1
	v_cmp_gt_i64_e32 vcc, s[0:1], v[0:1]
	s_and_saveexec_b64 s[10:11], vcc
	s_cbranch_execz .LBB33_2
; %bb.1:
	s_load_dword s6, s[2:3], 0x4
	s_sub_u32 s2, 0, s18
	v_mov_b32_e32 v2, s19
	v_subrev_co_u32_e32 v3, vcc, s18, v0
	s_waitcnt lgkmcnt(0)
	s_mul_i32 s6, s6, s8
	s_subb_u32 s3, 0, s19
	s_add_i32 s10, s6, s7
	v_subb_co_u32_e32 v2, vcc, v1, v2, vcc
	s_mul_i32 s7, s10, s17
	s_mul_hi_u32 s8, s10, s16
	v_ashrrev_i32_e32 v4, 31, v2
	s_add_i32 s7, s8, s7
	s_mul_i32 s1, s1, s10
	s_mul_hi_u32 s8, s0, s10
	v_xor_b32_e32 v5, v2, v4
	v_xor_b32_e32 v2, v3, v4
	s_add_i32 s1, s8, s1
	v_cmp_gt_i64_e64 s[8:9], s[2:3], 0
	v_sub_co_u32_e32 v2, vcc, v2, v4
	s_and_b64 s[8:9], s[8:9], exec
	v_subb_co_u32_e32 v3, vcc, v5, v4, vcc
	s_cselect_b32 s8, s3, 0
	s_cselect_b32 s9, s2, 0
	v_cmp_gt_i64_e64 s[2:3], s[18:19], 0
	v_mov_b32_e32 v4, s5
	v_subrev_co_u32_e32 v5, vcc, s4, v0
	s_and_b64 s[2:3], s[2:3], exec
	v_subb_co_u32_e32 v4, vcc, v1, v4, vcc
	s_cselect_b32 s3, s19, 0
	s_cselect_b32 s2, s18, 0
	v_add_co_u32_e32 v5, vcc, 1, v5
	v_addc_co_u32_e32 v4, vcc, 0, v4, vcc
	s_not_b64 s[2:3], s[2:3]
	v_ashrrev_i32_e32 v6, 31, v4
	s_add_u32 s4, s4, s18
	v_xor_b32_e32 v5, v5, v6
	s_addc_u32 s5, s5, s19
	v_xor_b32_e32 v4, v4, v6
	v_sub_co_u32_e32 v5, vcc, v5, v6
	s_add_u32 s2, s4, s2
	v_subb_co_u32_e32 v4, vcc, v4, v6, vcc
	s_addc_u32 s3, s5, s3
	s_add_u32 s2, s2, s9
	v_add_co_u32_e32 v5, vcc, v0, v5
	s_addc_u32 s3, s3, s8
	v_addc_co_u32_e32 v6, vcc, v1, v4, vcc
	v_mov_b32_e32 v7, s3
	v_sub_co_u32_e32 v4, vcc, s2, v5
	v_subb_co_u32_e32 v5, vcc, v7, v6, vcc
	v_lshlrev_b64 v[4:5], 3, v[4:5]
	v_mov_b32_e32 v6, s13
	v_add_co_u32_e32 v4, vcc, s12, v4
	v_addc_co_u32_e32 v5, vcc, v6, v5, vcc
	v_lshlrev_b64 v[2:3], 3, v[2:3]
	s_mul_i32 s6, s10, s16
	v_add_co_u32_e32 v2, vcc, v4, v2
	v_addc_co_u32_e32 v3, vcc, v5, v3, vcc
	s_lshl_b64 s[2:3], s[6:7], 3
	v_mov_b32_e32 v4, s3
	v_add_co_u32_e32 v2, vcc, s2, v2
	v_addc_co_u32_e32 v3, vcc, v3, v4, vcc
	global_load_dwordx2 v[2:3], v[2:3], off
	s_mul_i32 s0, s0, s10
	s_lshl_b64 s[0:1], s[0:1], 3
	s_add_u32 s0, s14, s0
	s_addc_u32 s1, s15, s1
	v_lshlrev_b64 v[0:1], 3, v[0:1]
	v_mov_b32_e32 v4, s1
	v_add_co_u32_e32 v0, vcc, s0, v0
	v_addc_co_u32_e32 v1, vcc, v4, v1, vcc
	s_waitcnt vmcnt(0)
	global_store_dwordx2 v[0:1], v[2:3], off
.LBB33_2:
	s_endpgm
	.section	.rodata,"a",@progbits
	.p2align	6, 0x0
	.amdhsa_kernel _ZN2at6native12_GLOBAL__N_127reflection_pad1d_out_kernelIdEEvPKT_PS3_lll
		.amdhsa_group_segment_fixed_size 0
		.amdhsa_private_segment_fixed_size 0
		.amdhsa_kernarg_size 296
		.amdhsa_user_sgpr_count 6
		.amdhsa_user_sgpr_private_segment_buffer 1
		.amdhsa_user_sgpr_dispatch_ptr 0
		.amdhsa_user_sgpr_queue_ptr 0
		.amdhsa_user_sgpr_kernarg_segment_ptr 1
		.amdhsa_user_sgpr_dispatch_id 0
		.amdhsa_user_sgpr_flat_scratch_init 0
		.amdhsa_user_sgpr_kernarg_preload_length 0
		.amdhsa_user_sgpr_kernarg_preload_offset 0
		.amdhsa_user_sgpr_private_segment_size 0
		.amdhsa_uses_dynamic_stack 0
		.amdhsa_system_sgpr_private_segment_wavefront_offset 0
		.amdhsa_system_sgpr_workgroup_id_x 1
		.amdhsa_system_sgpr_workgroup_id_y 1
		.amdhsa_system_sgpr_workgroup_id_z 1
		.amdhsa_system_sgpr_workgroup_info 0
		.amdhsa_system_vgpr_workitem_id 0
		.amdhsa_next_free_vgpr 8
		.amdhsa_next_free_sgpr 20
		.amdhsa_accum_offset 8
		.amdhsa_reserve_vcc 1
		.amdhsa_reserve_flat_scratch 0
		.amdhsa_float_round_mode_32 0
		.amdhsa_float_round_mode_16_64 0
		.amdhsa_float_denorm_mode_32 3
		.amdhsa_float_denorm_mode_16_64 3
		.amdhsa_dx10_clamp 1
		.amdhsa_ieee_mode 1
		.amdhsa_fp16_overflow 0
		.amdhsa_tg_split 0
		.amdhsa_exception_fp_ieee_invalid_op 0
		.amdhsa_exception_fp_denorm_src 0
		.amdhsa_exception_fp_ieee_div_zero 0
		.amdhsa_exception_fp_ieee_overflow 0
		.amdhsa_exception_fp_ieee_underflow 0
		.amdhsa_exception_fp_ieee_inexact 0
		.amdhsa_exception_int_div_zero 0
	.end_amdhsa_kernel
	.section	.text._ZN2at6native12_GLOBAL__N_127reflection_pad1d_out_kernelIdEEvPKT_PS3_lll,"axG",@progbits,_ZN2at6native12_GLOBAL__N_127reflection_pad1d_out_kernelIdEEvPKT_PS3_lll,comdat
.Lfunc_end33:
	.size	_ZN2at6native12_GLOBAL__N_127reflection_pad1d_out_kernelIdEEvPKT_PS3_lll, .Lfunc_end33-_ZN2at6native12_GLOBAL__N_127reflection_pad1d_out_kernelIdEEvPKT_PS3_lll
                                        ; -- End function
	.section	.AMDGPU.csdata,"",@progbits
; Kernel info:
; codeLenInByte = 416
; NumSgprs: 24
; NumVgprs: 8
; NumAgprs: 0
; TotalNumVgprs: 8
; ScratchSize: 0
; MemoryBound: 0
; FloatMode: 240
; IeeeMode: 1
; LDSByteSize: 0 bytes/workgroup (compile time only)
; SGPRBlocks: 2
; VGPRBlocks: 0
; NumSGPRsForWavesPerEU: 24
; NumVGPRsForWavesPerEU: 8
; AccumOffset: 8
; Occupancy: 8
; WaveLimiterHint : 0
; COMPUTE_PGM_RSRC2:SCRATCH_EN: 0
; COMPUTE_PGM_RSRC2:USER_SGPR: 6
; COMPUTE_PGM_RSRC2:TRAP_HANDLER: 0
; COMPUTE_PGM_RSRC2:TGID_X_EN: 1
; COMPUTE_PGM_RSRC2:TGID_Y_EN: 1
; COMPUTE_PGM_RSRC2:TGID_Z_EN: 1
; COMPUTE_PGM_RSRC2:TIDIG_COMP_CNT: 0
; COMPUTE_PGM_RSRC3_GFX90A:ACCUM_OFFSET: 1
; COMPUTE_PGM_RSRC3_GFX90A:TG_SPLIT: 0
	.section	.text._ZN2at6native12_GLOBAL__N_121reflection_pad1d_flatIdEEvPKT_PS3_lllll,"axG",@progbits,_ZN2at6native12_GLOBAL__N_121reflection_pad1d_flatIdEEvPKT_PS3_lllll,comdat
	.globl	_ZN2at6native12_GLOBAL__N_121reflection_pad1d_flatIdEEvPKT_PS3_lllll ; -- Begin function _ZN2at6native12_GLOBAL__N_121reflection_pad1d_flatIdEEvPKT_PS3_lllll
	.p2align	8
	.type	_ZN2at6native12_GLOBAL__N_121reflection_pad1d_flatIdEEvPKT_PS3_lllll,@function
_ZN2at6native12_GLOBAL__N_121reflection_pad1d_flatIdEEvPKT_PS3_lllll: ; @_ZN2at6native12_GLOBAL__N_121reflection_pad1d_flatIdEEvPKT_PS3_lllll
; %bb.0:
	s_load_dword s2, s[4:5], 0x44
	s_load_dwordx4 s[16:19], s[4:5], 0x28
	s_add_u32 s0, s4, 56
	v_mov_b32_e32 v2, 0
	s_addc_u32 s1, s5, 0
	s_waitcnt lgkmcnt(0)
	s_and_b32 s2, s2, 0xffff
	s_mul_i32 s3, s18, s17
	s_mul_hi_u32 s7, s18, s16
	v_mov_b32_e32 v1, v2
	s_add_i32 s3, s7, s3
	s_mul_i32 s7, s19, s16
	v_mov_b32_e32 v3, s6
	s_add_i32 s19, s3, s7
	s_mul_i32 s18, s18, s16
	v_mad_u64_u32 v[0:1], s[6:7], s2, v3, v[0:1]
	v_cmp_gt_i64_e32 vcc, s[18:19], v[0:1]
	s_and_saveexec_b64 s[6:7], vcc
	s_cbranch_execz .LBB34_13
; %bb.1:
	v_cvt_f32_u32_e32 v3, s16
	s_load_dword s3, s[0:1], 0x0
	s_load_dwordx8 s[8:15], s[4:5], 0x0
	v_lshlrev_b64 v[4:5], 3, v[0:1]
	s_mov_b64 s[4:5], 0
	v_rcp_iflag_f32_e32 v3, v3
	s_waitcnt lgkmcnt(0)
	s_mul_hi_u32 s7, s2, s3
	s_lshl_b64 s[0:1], s[12:13], 1
	s_add_u32 s20, s0, -2
	s_addc_u32 s21, s1, -1
	v_mul_f32_e32 v3, 0x4f7ffffe, v3
	s_sub_u32 s28, 0, s16
	v_cvt_u32_f32_e32 v12, v3
	s_subb_u32 s29, 0, s17
	s_mul_i32 s6, s2, s3
	s_sub_u32 s30, 0, s14
	v_mov_b32_e32 v6, s11
	v_add_co_u32_e32 v4, vcc, s10, v4
	v_cmp_gt_i64_e64 s[22:23], s[20:21], 0
	s_subb_u32 s31, 0, s15
	v_addc_co_u32_e32 v5, vcc, v6, v5, vcc
	s_lshl_b64 s[10:11], s[6:7], 3
	s_ashr_i32 s14, s17, 31
	s_branch .LBB34_4
.LBB34_2:                               ;   in Loop: Header=BB34_4 Depth=1
	s_or_b64 exec, exec, s[0:1]
	v_ashrrev_i32_e32 v3, 31, v11
	v_and_b32_e32 v9, s21, v3
	v_and_b32_e32 v3, s20, v3
	v_add_co_u32_e32 v8, vcc, v3, v10
	v_addc_co_u32_e32 v9, vcc, v9, v11, vcc
	v_mov_b32_e32 v3, s21
	v_sub_co_u32_e32 v10, vcc, s20, v8
	v_subb_co_u32_e32 v3, vcc, v3, v9, vcc
	v_cmp_gt_i64_e32 vcc, s[12:13], v[8:9]
	v_cndmask_b32_e32 v9, v3, v9, vcc
	v_cndmask_b32_e32 v8, v10, v8, vcc
.LBB34_3:                               ;   in Loop: Header=BB34_4 Depth=1
	v_mul_lo_u32 v3, v7, s12
	v_mul_lo_u32 v10, v6, s13
	v_mad_u64_u32 v[6:7], s[0:1], v6, s12, 0
	v_add3_u32 v7, v7, v10, v3
	v_lshlrev_b64 v[6:7], 3, v[6:7]
	v_mov_b32_e32 v3, s9
	v_add_co_u32_e32 v10, vcc, s8, v6
	v_addc_co_u32_e32 v3, vcc, v3, v7, vcc
	v_lshlrev_b64 v[6:7], 3, v[8:9]
	v_add_co_u32_e32 v6, vcc, v10, v6
	v_addc_co_u32_e32 v7, vcc, v3, v7, vcc
	global_load_dwordx2 v[6:7], v[6:7], off
	v_mov_b32_e32 v3, s7
	v_add_co_u32_e32 v0, vcc, s6, v0
	v_addc_co_u32_e32 v1, vcc, v1, v3, vcc
	v_cmp_le_i64_e32 vcc, s[18:19], v[0:1]
	v_mov_b32_e32 v8, s11
	s_or_b64 s[4:5], vcc, s[4:5]
	s_waitcnt vmcnt(0)
	global_store_dwordx2 v[4:5], v[6:7], off
	v_add_co_u32_e32 v4, vcc, s10, v4
	v_addc_co_u32_e32 v5, vcc, v5, v8, vcc
	s_andn2_b64 exec, exec, s[4:5]
	s_cbranch_execz .LBB34_13
.LBB34_4:                               ; =>This Inner Loop Header: Depth=1
	v_or_b32_e32 v3, s17, v1
	v_cmp_ne_u64_e32 vcc, 0, v[2:3]
                                        ; implicit-def: $vgpr6_vgpr7
	s_and_saveexec_b64 s[0:1], vcc
	s_xor_b64 s[2:3], exec, s[0:1]
	s_cbranch_execnz .LBB34_7
; %bb.5:                                ;   in Loop: Header=BB34_4 Depth=1
	s_andn2_saveexec_b64 s[0:1], s[2:3]
	s_cbranch_execnz .LBB34_8
.LBB34_6:                               ;   in Loop: Header=BB34_4 Depth=1
	s_or_b64 exec, exec, s[0:1]
	s_andn2_b64 vcc, exec, s[22:23]
	v_pk_mov_b32 v[8:9], 0, 0
	s_cbranch_vccnz .LBB34_3
	s_branch .LBB34_9
.LBB34_7:                               ;   in Loop: Header=BB34_4 Depth=1
	s_add_u32 s0, s16, s14
	s_mov_b32 s15, s14
	s_addc_u32 s1, s17, s14
	s_xor_b64 s[24:25], s[0:1], s[14:15]
	v_cvt_f32_u32_e32 v3, s24
	v_cvt_f32_u32_e32 v6, s25
	s_sub_u32 s0, 0, s24
	s_subb_u32 s1, 0, s25
	v_mac_f32_e32 v3, 0x4f800000, v6
	v_rcp_f32_e32 v3, v3
	v_mul_f32_e32 v3, 0x5f7ffffc, v3
	v_mul_f32_e32 v6, 0x2f800000, v3
	v_trunc_f32_e32 v6, v6
	v_mac_f32_e32 v3, 0xcf800000, v6
	v_cvt_u32_f32_e32 v6, v6
	v_cvt_u32_f32_e32 v3, v3
	v_mul_lo_u32 v7, s0, v6
	v_mul_hi_u32 v9, s0, v3
	v_mul_lo_u32 v8, s1, v3
	v_add_u32_e32 v7, v9, v7
	v_mul_lo_u32 v10, s0, v3
	v_add_u32_e32 v7, v7, v8
	v_mul_lo_u32 v9, v3, v7
	v_mul_hi_u32 v11, v3, v10
	v_mul_hi_u32 v8, v3, v7
	v_add_co_u32_e32 v9, vcc, v11, v9
	v_addc_co_u32_e32 v8, vcc, 0, v8, vcc
	v_mul_hi_u32 v13, v6, v10
	v_mul_lo_u32 v10, v6, v10
	v_add_co_u32_e32 v9, vcc, v9, v10
	v_mul_hi_u32 v11, v6, v7
	v_addc_co_u32_e32 v8, vcc, v8, v13, vcc
	v_addc_co_u32_e32 v9, vcc, 0, v11, vcc
	v_mul_lo_u32 v7, v6, v7
	v_add_co_u32_e32 v7, vcc, v8, v7
	v_addc_co_u32_e32 v8, vcc, 0, v9, vcc
	v_add_co_u32_e32 v3, vcc, v3, v7
	v_addc_co_u32_e32 v6, vcc, v6, v8, vcc
	v_mul_lo_u32 v7, s0, v6
	v_mul_hi_u32 v8, s0, v3
	v_add_u32_e32 v7, v8, v7
	v_mul_lo_u32 v8, s1, v3
	v_add_u32_e32 v7, v7, v8
	v_mul_lo_u32 v9, s0, v3
	v_mul_hi_u32 v10, v6, v9
	v_mul_lo_u32 v11, v6, v9
	v_mul_lo_u32 v14, v3, v7
	v_mul_hi_u32 v9, v3, v9
	v_mul_hi_u32 v13, v3, v7
	v_add_co_u32_e32 v9, vcc, v9, v14
	v_addc_co_u32_e32 v13, vcc, 0, v13, vcc
	v_add_co_u32_e32 v9, vcc, v9, v11
	v_mul_hi_u32 v8, v6, v7
	v_addc_co_u32_e32 v9, vcc, v13, v10, vcc
	v_addc_co_u32_e32 v8, vcc, 0, v8, vcc
	v_mul_lo_u32 v7, v6, v7
	v_add_co_u32_e32 v7, vcc, v9, v7
	v_addc_co_u32_e32 v8, vcc, 0, v8, vcc
	v_add_co_u32_e32 v3, vcc, v3, v7
	v_addc_co_u32_e32 v8, vcc, v6, v8, vcc
	v_ashrrev_i32_e32 v10, 31, v1
	v_add_co_u32_e32 v6, vcc, v0, v10
	v_addc_co_u32_e32 v7, vcc, v1, v10, vcc
	v_xor_b32_e32 v13, v6, v10
	v_xor_b32_e32 v11, v7, v10
	v_mad_u64_u32 v[6:7], s[0:1], v13, v8, 0
	v_mul_hi_u32 v9, v13, v3
	v_add_co_u32_e32 v14, vcc, v9, v6
	v_addc_co_u32_e32 v15, vcc, 0, v7, vcc
	v_mad_u64_u32 v[6:7], s[0:1], v11, v8, 0
	v_mad_u64_u32 v[8:9], s[0:1], v11, v3, 0
	v_add_co_u32_e32 v3, vcc, v14, v8
	v_addc_co_u32_e32 v3, vcc, v15, v9, vcc
	v_addc_co_u32_e32 v7, vcc, 0, v7, vcc
	v_add_co_u32_e32 v3, vcc, v3, v6
	v_addc_co_u32_e32 v8, vcc, 0, v7, vcc
	v_mul_lo_u32 v9, s25, v3
	v_mul_lo_u32 v14, s24, v8
	v_mad_u64_u32 v[6:7], s[0:1], s24, v3, 0
	v_add3_u32 v7, v7, v14, v9
	v_sub_u32_e32 v9, v11, v7
	v_mov_b32_e32 v14, s25
	v_sub_co_u32_e32 v6, vcc, v13, v6
	v_subb_co_u32_e64 v9, s[0:1], v9, v14, vcc
	v_subrev_co_u32_e64 v13, s[0:1], s24, v6
	v_subbrev_co_u32_e64 v9, s[0:1], 0, v9, s[0:1]
	v_cmp_le_u32_e64 s[0:1], s25, v9
	v_cndmask_b32_e64 v14, 0, -1, s[0:1]
	v_cmp_le_u32_e64 s[0:1], s24, v13
	v_cndmask_b32_e64 v13, 0, -1, s[0:1]
	v_cmp_eq_u32_e64 s[0:1], s25, v9
	v_cndmask_b32_e64 v9, v14, v13, s[0:1]
	v_add_co_u32_e64 v13, s[0:1], 2, v3
	v_subb_co_u32_e32 v7, vcc, v11, v7, vcc
	v_addc_co_u32_e64 v14, s[0:1], 0, v8, s[0:1]
	v_cmp_le_u32_e32 vcc, s25, v7
	v_add_co_u32_e64 v15, s[0:1], 1, v3
	v_cndmask_b32_e64 v11, 0, -1, vcc
	v_cmp_le_u32_e32 vcc, s24, v6
	v_addc_co_u32_e64 v16, s[0:1], 0, v8, s[0:1]
	v_cndmask_b32_e64 v6, 0, -1, vcc
	v_cmp_eq_u32_e32 vcc, s25, v7
	v_cmp_ne_u32_e64 s[0:1], 0, v9
	v_cndmask_b32_e32 v6, v11, v6, vcc
	v_cmp_ne_u32_e32 vcc, 0, v6
	v_cndmask_b32_e64 v7, v15, v13, s[0:1]
	v_cndmask_b32_e64 v9, v16, v14, s[0:1]
	v_cndmask_b32_e32 v3, v3, v7, vcc
	v_xor_b32_e32 v7, s14, v10
	v_cndmask_b32_e32 v6, v8, v9, vcc
	v_xor_b32_e32 v3, v3, v7
	v_xor_b32_e32 v8, v6, v7
	v_sub_co_u32_e32 v6, vcc, v3, v7
	v_subb_co_u32_e32 v7, vcc, v8, v7, vcc
	s_andn2_saveexec_b64 s[0:1], s[2:3]
	s_cbranch_execz .LBB34_6
.LBB34_8:                               ;   in Loop: Header=BB34_4 Depth=1
	s_sub_i32 s2, 0, s16
	v_mul_lo_u32 v3, s2, v12
	v_mul_hi_u32 v3, v12, v3
	v_add_u32_e32 v3, v12, v3
	v_mul_hi_u32 v3, v0, v3
	v_mul_lo_u32 v6, v3, s16
	v_sub_u32_e32 v6, v0, v6
	v_subrev_u32_e32 v7, s16, v6
	v_cmp_le_u32_e32 vcc, s16, v6
	v_cndmask_b32_e32 v6, v6, v7, vcc
	v_add_u32_e32 v7, 1, v3
	v_cndmask_b32_e32 v3, v3, v7, vcc
	v_add_u32_e32 v7, 1, v3
	v_cmp_le_u32_e32 vcc, s16, v6
	v_cndmask_b32_e32 v6, v3, v7, vcc
	v_mov_b32_e32 v7, v2
	s_or_b64 exec, exec, s[0:1]
	s_andn2_b64 vcc, exec, s[22:23]
	v_pk_mov_b32 v[8:9], 0, 0
	s_cbranch_vccnz .LBB34_3
.LBB34_9:                               ;   in Loop: Header=BB34_4 Depth=1
	v_mov_b32_e32 v3, s31
	v_add_co_u32_e32 v8, vcc, s30, v0
	v_addc_co_u32_e32 v9, vcc, v3, v1, vcc
	v_mul_lo_u32 v3, s28, v7
	v_mul_lo_u32 v10, s29, v6
	v_mad_u64_u32 v[8:9], s[0:1], s28, v6, v[8:9]
	v_add3_u32 v9, v10, v9, v3
	v_or_b32_e32 v3, s21, v9
	v_cmp_ne_u64_e32 vcc, 0, v[2:3]
                                        ; implicit-def: $vgpr10_vgpr11
	s_and_saveexec_b64 s[0:1], vcc
	s_xor_b64 s[24:25], exec, s[0:1]
	s_cbranch_execz .LBB34_11
; %bb.10:                               ;   in Loop: Header=BB34_4 Depth=1
	s_ashr_i32 s0, s21, 31
	s_add_u32 s2, s20, s0
	s_mov_b32 s1, s0
	s_addc_u32 s3, s21, s0
	s_xor_b64 s[26:27], s[2:3], s[0:1]
	v_cvt_f32_u32_e32 v3, s26
	v_cvt_f32_u32_e32 v10, s27
	s_sub_u32 s0, 0, s26
	s_subb_u32 s1, 0, s27
	v_mac_f32_e32 v3, 0x4f800000, v10
	v_rcp_f32_e32 v3, v3
	v_mul_f32_e32 v3, 0x5f7ffffc, v3
	v_mul_f32_e32 v10, 0x2f800000, v3
	v_trunc_f32_e32 v10, v10
	v_mac_f32_e32 v3, 0xcf800000, v10
	v_cvt_u32_f32_e32 v10, v10
	v_cvt_u32_f32_e32 v3, v3
	v_mul_lo_u32 v11, s0, v10
	v_mul_hi_u32 v14, s0, v3
	v_mul_lo_u32 v13, s1, v3
	v_add_u32_e32 v11, v14, v11
	v_mul_lo_u32 v15, s0, v3
	v_add_u32_e32 v11, v11, v13
	v_mul_lo_u32 v14, v3, v11
	v_mul_hi_u32 v16, v3, v15
	v_mul_hi_u32 v13, v3, v11
	v_add_co_u32_e32 v14, vcc, v16, v14
	v_addc_co_u32_e32 v13, vcc, 0, v13, vcc
	v_mul_hi_u32 v17, v10, v15
	v_mul_lo_u32 v15, v10, v15
	v_add_co_u32_e32 v14, vcc, v14, v15
	v_mul_hi_u32 v16, v10, v11
	v_addc_co_u32_e32 v13, vcc, v13, v17, vcc
	v_addc_co_u32_e32 v14, vcc, 0, v16, vcc
	v_mul_lo_u32 v11, v10, v11
	v_add_co_u32_e32 v11, vcc, v13, v11
	v_addc_co_u32_e32 v13, vcc, 0, v14, vcc
	v_add_co_u32_e32 v3, vcc, v3, v11
	v_addc_co_u32_e32 v10, vcc, v10, v13, vcc
	v_mul_lo_u32 v11, s0, v10
	v_mul_hi_u32 v13, s0, v3
	v_add_u32_e32 v11, v13, v11
	v_mul_lo_u32 v13, s1, v3
	v_add_u32_e32 v11, v11, v13
	v_mul_lo_u32 v14, s0, v3
	v_mul_hi_u32 v15, v10, v14
	v_mul_lo_u32 v16, v10, v14
	v_mul_lo_u32 v18, v3, v11
	v_mul_hi_u32 v14, v3, v14
	v_mul_hi_u32 v17, v3, v11
	v_add_co_u32_e32 v14, vcc, v14, v18
	v_addc_co_u32_e32 v17, vcc, 0, v17, vcc
	v_add_co_u32_e32 v14, vcc, v14, v16
	v_mul_hi_u32 v13, v10, v11
	v_addc_co_u32_e32 v14, vcc, v17, v15, vcc
	v_addc_co_u32_e32 v13, vcc, 0, v13, vcc
	v_mul_lo_u32 v11, v10, v11
	v_add_co_u32_e32 v11, vcc, v14, v11
	v_addc_co_u32_e32 v13, vcc, 0, v13, vcc
	v_add_co_u32_e32 v3, vcc, v3, v11
	v_addc_co_u32_e32 v10, vcc, v10, v13, vcc
	v_ashrrev_i32_e32 v13, 31, v9
	v_add_co_u32_e32 v8, vcc, v8, v13
	v_addc_co_u32_e32 v9, vcc, v9, v13, vcc
	v_xor_b32_e32 v15, v8, v13
	v_xor_b32_e32 v14, v9, v13
	v_mad_u64_u32 v[8:9], s[0:1], v15, v10, 0
	v_mul_hi_u32 v11, v15, v3
	v_add_co_u32_e32 v16, vcc, v11, v8
	v_addc_co_u32_e32 v17, vcc, 0, v9, vcc
	v_mad_u64_u32 v[8:9], s[0:1], v14, v10, 0
	v_mad_u64_u32 v[10:11], s[0:1], v14, v3, 0
	v_add_co_u32_e32 v3, vcc, v16, v10
	v_addc_co_u32_e32 v3, vcc, v17, v11, vcc
	v_addc_co_u32_e32 v9, vcc, 0, v9, vcc
	v_add_co_u32_e32 v3, vcc, v3, v8
	v_addc_co_u32_e32 v8, vcc, 0, v9, vcc
	v_mul_lo_u32 v10, s27, v3
	v_mul_lo_u32 v11, s26, v8
	v_mad_u64_u32 v[8:9], s[0:1], s26, v3, 0
	v_add3_u32 v3, v9, v11, v10
	v_sub_u32_e32 v9, v14, v3
	v_mov_b32_e32 v10, s27
	v_sub_co_u32_e32 v8, vcc, v15, v8
	v_subb_co_u32_e64 v9, s[0:1], v9, v10, vcc
	v_subrev_co_u32_e64 v11, s[0:1], s26, v8
	v_subbrev_co_u32_e64 v15, s[2:3], 0, v9, s[0:1]
	v_cmp_le_u32_e64 s[2:3], s27, v15
	v_cndmask_b32_e64 v16, 0, -1, s[2:3]
	v_cmp_le_u32_e64 s[2:3], s26, v11
	v_subb_co_u32_e64 v9, s[0:1], v9, v10, s[0:1]
	v_cndmask_b32_e64 v17, 0, -1, s[2:3]
	v_cmp_eq_u32_e64 s[2:3], s27, v15
	v_subrev_co_u32_e64 v10, s[0:1], s26, v11
	v_subb_co_u32_e32 v3, vcc, v14, v3, vcc
	v_cndmask_b32_e64 v16, v16, v17, s[2:3]
	v_subbrev_co_u32_e64 v9, s[0:1], 0, v9, s[0:1]
	v_cmp_le_u32_e32 vcc, s27, v3
	v_cmp_ne_u32_e64 s[0:1], 0, v16
	v_cndmask_b32_e64 v14, 0, -1, vcc
	v_cmp_le_u32_e32 vcc, s26, v8
	v_cndmask_b32_e64 v9, v15, v9, s[0:1]
	v_cndmask_b32_e64 v15, 0, -1, vcc
	v_cmp_eq_u32_e32 vcc, s27, v3
	v_cndmask_b32_e32 v14, v14, v15, vcc
	v_cmp_ne_u32_e32 vcc, 0, v14
	v_cndmask_b32_e32 v3, v3, v9, vcc
	v_cndmask_b32_e64 v9, v11, v10, s[0:1]
	v_cndmask_b32_e32 v8, v8, v9, vcc
	v_xor_b32_e32 v8, v8, v13
	v_xor_b32_e32 v3, v3, v13
	v_sub_co_u32_e32 v10, vcc, v8, v13
	v_subb_co_u32_e32 v11, vcc, v3, v13, vcc
                                        ; implicit-def: $vgpr8_vgpr9
.LBB34_11:                              ;   in Loop: Header=BB34_4 Depth=1
	s_andn2_saveexec_b64 s[0:1], s[24:25]
	s_cbranch_execz .LBB34_2
; %bb.12:                               ;   in Loop: Header=BB34_4 Depth=1
	v_cvt_f32_u32_e32 v3, s20
	s_sub_i32 s2, 0, s20
	v_mov_b32_e32 v11, v2
	v_rcp_iflag_f32_e32 v3, v3
	v_mul_f32_e32 v3, 0x4f7ffffe, v3
	v_cvt_u32_f32_e32 v3, v3
	v_mul_lo_u32 v9, s2, v3
	v_mul_hi_u32 v9, v3, v9
	v_add_u32_e32 v3, v3, v9
	v_mul_hi_u32 v3, v8, v3
	v_mul_lo_u32 v3, v3, s20
	v_sub_u32_e32 v3, v8, v3
	v_subrev_u32_e32 v8, s20, v3
	v_cmp_le_u32_e32 vcc, s20, v3
	v_cndmask_b32_e32 v3, v3, v8, vcc
	v_subrev_u32_e32 v8, s20, v3
	v_cmp_le_u32_e32 vcc, s20, v3
	v_cndmask_b32_e32 v10, v3, v8, vcc
	s_branch .LBB34_2
.LBB34_13:
	s_endpgm
	.section	.rodata,"a",@progbits
	.p2align	6, 0x0
	.amdhsa_kernel _ZN2at6native12_GLOBAL__N_121reflection_pad1d_flatIdEEvPKT_PS3_lllll
		.amdhsa_group_segment_fixed_size 0
		.amdhsa_private_segment_fixed_size 0
		.amdhsa_kernarg_size 312
		.amdhsa_user_sgpr_count 6
		.amdhsa_user_sgpr_private_segment_buffer 1
		.amdhsa_user_sgpr_dispatch_ptr 0
		.amdhsa_user_sgpr_queue_ptr 0
		.amdhsa_user_sgpr_kernarg_segment_ptr 1
		.amdhsa_user_sgpr_dispatch_id 0
		.amdhsa_user_sgpr_flat_scratch_init 0
		.amdhsa_user_sgpr_kernarg_preload_length 0
		.amdhsa_user_sgpr_kernarg_preload_offset 0
		.amdhsa_user_sgpr_private_segment_size 0
		.amdhsa_uses_dynamic_stack 0
		.amdhsa_system_sgpr_private_segment_wavefront_offset 0
		.amdhsa_system_sgpr_workgroup_id_x 1
		.amdhsa_system_sgpr_workgroup_id_y 0
		.amdhsa_system_sgpr_workgroup_id_z 0
		.amdhsa_system_sgpr_workgroup_info 0
		.amdhsa_system_vgpr_workitem_id 0
		.amdhsa_next_free_vgpr 19
		.amdhsa_next_free_sgpr 32
		.amdhsa_accum_offset 20
		.amdhsa_reserve_vcc 1
		.amdhsa_reserve_flat_scratch 0
		.amdhsa_float_round_mode_32 0
		.amdhsa_float_round_mode_16_64 0
		.amdhsa_float_denorm_mode_32 3
		.amdhsa_float_denorm_mode_16_64 3
		.amdhsa_dx10_clamp 1
		.amdhsa_ieee_mode 1
		.amdhsa_fp16_overflow 0
		.amdhsa_tg_split 0
		.amdhsa_exception_fp_ieee_invalid_op 0
		.amdhsa_exception_fp_denorm_src 0
		.amdhsa_exception_fp_ieee_div_zero 0
		.amdhsa_exception_fp_ieee_overflow 0
		.amdhsa_exception_fp_ieee_underflow 0
		.amdhsa_exception_fp_ieee_inexact 0
		.amdhsa_exception_int_div_zero 0
	.end_amdhsa_kernel
	.section	.text._ZN2at6native12_GLOBAL__N_121reflection_pad1d_flatIdEEvPKT_PS3_lllll,"axG",@progbits,_ZN2at6native12_GLOBAL__N_121reflection_pad1d_flatIdEEvPKT_PS3_lllll,comdat
.Lfunc_end34:
	.size	_ZN2at6native12_GLOBAL__N_121reflection_pad1d_flatIdEEvPKT_PS3_lllll, .Lfunc_end34-_ZN2at6native12_GLOBAL__N_121reflection_pad1d_flatIdEEvPKT_PS3_lllll
                                        ; -- End function
	.section	.AMDGPU.csdata,"",@progbits
; Kernel info:
; codeLenInByte = 2040
; NumSgprs: 36
; NumVgprs: 19
; NumAgprs: 0
; TotalNumVgprs: 19
; ScratchSize: 0
; MemoryBound: 0
; FloatMode: 240
; IeeeMode: 1
; LDSByteSize: 0 bytes/workgroup (compile time only)
; SGPRBlocks: 4
; VGPRBlocks: 2
; NumSGPRsForWavesPerEU: 36
; NumVGPRsForWavesPerEU: 19
; AccumOffset: 20
; Occupancy: 8
; WaveLimiterHint : 0
; COMPUTE_PGM_RSRC2:SCRATCH_EN: 0
; COMPUTE_PGM_RSRC2:USER_SGPR: 6
; COMPUTE_PGM_RSRC2:TRAP_HANDLER: 0
; COMPUTE_PGM_RSRC2:TGID_X_EN: 1
; COMPUTE_PGM_RSRC2:TGID_Y_EN: 0
; COMPUTE_PGM_RSRC2:TGID_Z_EN: 0
; COMPUTE_PGM_RSRC2:TIDIG_COMP_CNT: 0
; COMPUTE_PGM_RSRC3_GFX90A:ACCUM_OFFSET: 4
; COMPUTE_PGM_RSRC3_GFX90A:TG_SPLIT: 0
	.section	.text._ZN2at6native12_GLOBAL__N_127reflection_pad1d_out_kernelIfEEvPKT_PS3_lll,"axG",@progbits,_ZN2at6native12_GLOBAL__N_127reflection_pad1d_out_kernelIfEEvPKT_PS3_lll,comdat
	.globl	_ZN2at6native12_GLOBAL__N_127reflection_pad1d_out_kernelIfEEvPKT_PS3_lll ; -- Begin function _ZN2at6native12_GLOBAL__N_127reflection_pad1d_out_kernelIfEEvPKT_PS3_lll
	.p2align	8
	.type	_ZN2at6native12_GLOBAL__N_127reflection_pad1d_out_kernelIfEEvPKT_PS3_lll,@function
_ZN2at6native12_GLOBAL__N_127reflection_pad1d_out_kernelIfEEvPKT_PS3_lll: ; @_ZN2at6native12_GLOBAL__N_127reflection_pad1d_out_kernelIfEEvPKT_PS3_lll
; %bb.0:
	s_load_dword s9, s[4:5], 0x34
	s_load_dwordx2 s[0:1], s[4:5], 0x20
	s_load_dwordx8 s[12:19], s[4:5], 0x0
	s_add_u32 s2, s4, 40
	s_addc_u32 s3, s5, 0
	s_waitcnt lgkmcnt(0)
	s_and_b32 s4, s9, 0xffff
	v_mov_b32_e32 v1, 0
	v_mov_b32_e32 v2, s6
	v_mad_u64_u32 v[0:1], s[4:5], s4, v2, v[0:1]
	s_add_u32 s4, s18, s16
	s_addc_u32 s5, s19, s17
	s_add_u32 s0, s4, s0
	s_addc_u32 s1, s5, s1
	v_cmp_gt_i64_e32 vcc, s[0:1], v[0:1]
	s_and_saveexec_b64 s[10:11], vcc
	s_cbranch_execz .LBB35_2
; %bb.1:
	s_load_dword s6, s[2:3], 0x4
	s_sub_u32 s2, 0, s18
	v_mov_b32_e32 v2, s19
	v_subrev_co_u32_e32 v3, vcc, s18, v0
	s_waitcnt lgkmcnt(0)
	s_mul_i32 s6, s6, s8
	s_subb_u32 s3, 0, s19
	s_add_i32 s10, s6, s7
	v_subb_co_u32_e32 v2, vcc, v1, v2, vcc
	s_mul_i32 s7, s10, s17
	s_mul_hi_u32 s8, s10, s16
	v_ashrrev_i32_e32 v4, 31, v2
	s_add_i32 s7, s8, s7
	s_mul_i32 s1, s1, s10
	s_mul_hi_u32 s8, s0, s10
	v_xor_b32_e32 v5, v2, v4
	v_xor_b32_e32 v2, v3, v4
	s_add_i32 s1, s8, s1
	v_cmp_gt_i64_e64 s[8:9], s[2:3], 0
	v_sub_co_u32_e32 v2, vcc, v2, v4
	s_and_b64 s[8:9], s[8:9], exec
	v_subb_co_u32_e32 v3, vcc, v5, v4, vcc
	s_cselect_b32 s8, s3, 0
	s_cselect_b32 s9, s2, 0
	v_cmp_gt_i64_e64 s[2:3], s[18:19], 0
	v_mov_b32_e32 v4, s5
	v_subrev_co_u32_e32 v5, vcc, s4, v0
	s_and_b64 s[2:3], s[2:3], exec
	v_subb_co_u32_e32 v4, vcc, v1, v4, vcc
	s_cselect_b32 s3, s19, 0
	s_cselect_b32 s2, s18, 0
	v_add_co_u32_e32 v5, vcc, 1, v5
	v_addc_co_u32_e32 v4, vcc, 0, v4, vcc
	s_not_b64 s[2:3], s[2:3]
	v_ashrrev_i32_e32 v6, 31, v4
	s_add_u32 s4, s4, s18
	v_xor_b32_e32 v5, v5, v6
	s_addc_u32 s5, s5, s19
	v_xor_b32_e32 v4, v4, v6
	v_sub_co_u32_e32 v5, vcc, v5, v6
	s_add_u32 s2, s4, s2
	v_subb_co_u32_e32 v4, vcc, v4, v6, vcc
	s_addc_u32 s3, s5, s3
	s_add_u32 s2, s2, s9
	v_add_co_u32_e32 v5, vcc, v0, v5
	s_addc_u32 s3, s3, s8
	v_addc_co_u32_e32 v6, vcc, v1, v4, vcc
	v_mov_b32_e32 v7, s3
	v_sub_co_u32_e32 v4, vcc, s2, v5
	v_subb_co_u32_e32 v5, vcc, v7, v6, vcc
	v_lshlrev_b64 v[4:5], 2, v[4:5]
	v_mov_b32_e32 v6, s13
	v_add_co_u32_e32 v4, vcc, s12, v4
	v_addc_co_u32_e32 v5, vcc, v6, v5, vcc
	v_lshlrev_b64 v[2:3], 2, v[2:3]
	s_mul_i32 s6, s10, s16
	v_add_co_u32_e32 v2, vcc, v4, v2
	v_addc_co_u32_e32 v3, vcc, v5, v3, vcc
	s_lshl_b64 s[2:3], s[6:7], 2
	v_mov_b32_e32 v4, s3
	v_add_co_u32_e32 v2, vcc, s2, v2
	v_addc_co_u32_e32 v3, vcc, v3, v4, vcc
	global_load_dword v2, v[2:3], off
	s_mul_i32 s0, s0, s10
	s_lshl_b64 s[0:1], s[0:1], 2
	s_add_u32 s0, s14, s0
	s_addc_u32 s1, s15, s1
	v_lshlrev_b64 v[0:1], 2, v[0:1]
	v_mov_b32_e32 v3, s1
	v_add_co_u32_e32 v0, vcc, s0, v0
	v_addc_co_u32_e32 v1, vcc, v3, v1, vcc
	s_waitcnt vmcnt(0)
	global_store_dword v[0:1], v2, off
.LBB35_2:
	s_endpgm
	.section	.rodata,"a",@progbits
	.p2align	6, 0x0
	.amdhsa_kernel _ZN2at6native12_GLOBAL__N_127reflection_pad1d_out_kernelIfEEvPKT_PS3_lll
		.amdhsa_group_segment_fixed_size 0
		.amdhsa_private_segment_fixed_size 0
		.amdhsa_kernarg_size 296
		.amdhsa_user_sgpr_count 6
		.amdhsa_user_sgpr_private_segment_buffer 1
		.amdhsa_user_sgpr_dispatch_ptr 0
		.amdhsa_user_sgpr_queue_ptr 0
		.amdhsa_user_sgpr_kernarg_segment_ptr 1
		.amdhsa_user_sgpr_dispatch_id 0
		.amdhsa_user_sgpr_flat_scratch_init 0
		.amdhsa_user_sgpr_kernarg_preload_length 0
		.amdhsa_user_sgpr_kernarg_preload_offset 0
		.amdhsa_user_sgpr_private_segment_size 0
		.amdhsa_uses_dynamic_stack 0
		.amdhsa_system_sgpr_private_segment_wavefront_offset 0
		.amdhsa_system_sgpr_workgroup_id_x 1
		.amdhsa_system_sgpr_workgroup_id_y 1
		.amdhsa_system_sgpr_workgroup_id_z 1
		.amdhsa_system_sgpr_workgroup_info 0
		.amdhsa_system_vgpr_workitem_id 0
		.amdhsa_next_free_vgpr 8
		.amdhsa_next_free_sgpr 20
		.amdhsa_accum_offset 8
		.amdhsa_reserve_vcc 1
		.amdhsa_reserve_flat_scratch 0
		.amdhsa_float_round_mode_32 0
		.amdhsa_float_round_mode_16_64 0
		.amdhsa_float_denorm_mode_32 3
		.amdhsa_float_denorm_mode_16_64 3
		.amdhsa_dx10_clamp 1
		.amdhsa_ieee_mode 1
		.amdhsa_fp16_overflow 0
		.amdhsa_tg_split 0
		.amdhsa_exception_fp_ieee_invalid_op 0
		.amdhsa_exception_fp_denorm_src 0
		.amdhsa_exception_fp_ieee_div_zero 0
		.amdhsa_exception_fp_ieee_overflow 0
		.amdhsa_exception_fp_ieee_underflow 0
		.amdhsa_exception_fp_ieee_inexact 0
		.amdhsa_exception_int_div_zero 0
	.end_amdhsa_kernel
	.section	.text._ZN2at6native12_GLOBAL__N_127reflection_pad1d_out_kernelIfEEvPKT_PS3_lll,"axG",@progbits,_ZN2at6native12_GLOBAL__N_127reflection_pad1d_out_kernelIfEEvPKT_PS3_lll,comdat
.Lfunc_end35:
	.size	_ZN2at6native12_GLOBAL__N_127reflection_pad1d_out_kernelIfEEvPKT_PS3_lll, .Lfunc_end35-_ZN2at6native12_GLOBAL__N_127reflection_pad1d_out_kernelIfEEvPKT_PS3_lll
                                        ; -- End function
	.section	.AMDGPU.csdata,"",@progbits
; Kernel info:
; codeLenInByte = 416
; NumSgprs: 24
; NumVgprs: 8
; NumAgprs: 0
; TotalNumVgprs: 8
; ScratchSize: 0
; MemoryBound: 0
; FloatMode: 240
; IeeeMode: 1
; LDSByteSize: 0 bytes/workgroup (compile time only)
; SGPRBlocks: 2
; VGPRBlocks: 0
; NumSGPRsForWavesPerEU: 24
; NumVGPRsForWavesPerEU: 8
; AccumOffset: 8
; Occupancy: 8
; WaveLimiterHint : 0
; COMPUTE_PGM_RSRC2:SCRATCH_EN: 0
; COMPUTE_PGM_RSRC2:USER_SGPR: 6
; COMPUTE_PGM_RSRC2:TRAP_HANDLER: 0
; COMPUTE_PGM_RSRC2:TGID_X_EN: 1
; COMPUTE_PGM_RSRC2:TGID_Y_EN: 1
; COMPUTE_PGM_RSRC2:TGID_Z_EN: 1
; COMPUTE_PGM_RSRC2:TIDIG_COMP_CNT: 0
; COMPUTE_PGM_RSRC3_GFX90A:ACCUM_OFFSET: 1
; COMPUTE_PGM_RSRC3_GFX90A:TG_SPLIT: 0
	.section	.text._ZN2at6native12_GLOBAL__N_121reflection_pad1d_flatIfEEvPKT_PS3_lllll,"axG",@progbits,_ZN2at6native12_GLOBAL__N_121reflection_pad1d_flatIfEEvPKT_PS3_lllll,comdat
	.globl	_ZN2at6native12_GLOBAL__N_121reflection_pad1d_flatIfEEvPKT_PS3_lllll ; -- Begin function _ZN2at6native12_GLOBAL__N_121reflection_pad1d_flatIfEEvPKT_PS3_lllll
	.p2align	8
	.type	_ZN2at6native12_GLOBAL__N_121reflection_pad1d_flatIfEEvPKT_PS3_lllll,@function
_ZN2at6native12_GLOBAL__N_121reflection_pad1d_flatIfEEvPKT_PS3_lllll: ; @_ZN2at6native12_GLOBAL__N_121reflection_pad1d_flatIfEEvPKT_PS3_lllll
; %bb.0:
	s_load_dword s2, s[4:5], 0x44
	s_load_dwordx4 s[8:11], s[4:5], 0x28
	s_add_u32 s0, s4, 56
	s_addc_u32 s1, s5, 0
	v_mov_b32_e32 v1, 0
	s_waitcnt lgkmcnt(0)
	s_and_b32 s7, s2, 0xffff
	s_mul_i32 s2, s10, s9
	s_mul_hi_u32 s3, s10, s8
	s_add_i32 s2, s3, s2
	s_mul_i32 s3, s11, s8
	v_mov_b32_e32 v2, s6
	s_add_i32 s11, s2, s3
	s_mul_i32 s10, s10, s8
	v_mad_u64_u32 v[2:3], s[2:3], s7, v2, v[0:1]
	v_cmp_gt_i64_e32 vcc, s[10:11], v[2:3]
	s_and_saveexec_b64 s[2:3], vcc
	s_cbranch_execz .LBB36_44
; %bb.1:
	s_load_dword s0, s[0:1], 0x0
	v_mov_b32_e32 v4, s7
	s_waitcnt lgkmcnt(0)
	s_add_u32 s52, s6, s0
	s_addc_u32 s36, 0, 0
	s_mul_hi_u32 s21, s7, s0
	s_mul_i32 s20, s7, s0
	s_mul_i32 s36, s36, s7
	v_mad_u64_u32 v[6:7], s[0:1], s52, v4, v[0:1]
	v_add_u32_e32 v7, s36, v7
	v_mov_b32_e32 v4, s11
	v_cmp_gt_i64_e32 vcc, s[10:11], v[6:7]
	v_cndmask_b32_e32 v8, v7, v4, vcc
	v_mov_b32_e32 v4, s10
	v_cndmask_b32_e32 v5, v6, v4, vcc
	v_cndmask_b32_e64 v4, 0, 1, vcc
	v_add_co_u32_e32 v6, vcc, v6, v4
	v_addc_co_u32_e32 v7, vcc, 0, v7, vcc
	v_sub_co_u32_e32 v5, vcc, v5, v6
	v_subb_co_u32_e32 v8, vcc, v8, v7, vcc
	v_or_b32_e32 v7, s21, v8
	v_mov_b32_e32 v6, v1
	v_cmp_ne_u64_e32 vcc, 0, v[6:7]
                                        ; implicit-def: $vgpr6_vgpr7
	s_and_saveexec_b64 s[0:1], vcc
	s_xor_b64 s[2:3], exec, s[0:1]
	s_cbranch_execz .LBB36_3
; %bb.2:
	v_cvt_f32_u32_e32 v1, s20
	v_cvt_f32_u32_e32 v6, s21
	s_sub_u32 s0, 0, s20
	s_subb_u32 s1, 0, s21
	v_madmk_f32 v1, v6, 0x4f800000, v1
	v_rcp_f32_e32 v1, v1
	v_mul_f32_e32 v1, 0x5f7ffffc, v1
	v_mul_f32_e32 v6, 0x2f800000, v1
	v_trunc_f32_e32 v6, v6
	v_madmk_f32 v1, v6, 0xcf800000, v1
	v_cvt_u32_f32_e32 v6, v6
	v_cvt_u32_f32_e32 v1, v1
	v_mul_lo_u32 v7, s0, v6
	v_mul_hi_u32 v10, s0, v1
	v_mul_lo_u32 v9, s1, v1
	v_add_u32_e32 v7, v10, v7
	v_mul_lo_u32 v11, s0, v1
	v_add_u32_e32 v7, v7, v9
	v_mul_hi_u32 v10, v1, v11
	v_mul_lo_u32 v12, v1, v7
	v_mul_hi_u32 v9, v1, v7
	v_add_co_u32_e32 v10, vcc, v10, v12
	v_addc_co_u32_e32 v9, vcc, 0, v9, vcc
	v_mul_hi_u32 v13, v6, v11
	v_mul_lo_u32 v11, v6, v11
	v_add_co_u32_e32 v10, vcc, v10, v11
	v_mul_hi_u32 v12, v6, v7
	v_addc_co_u32_e32 v9, vcc, v9, v13, vcc
	v_addc_co_u32_e32 v10, vcc, 0, v12, vcc
	v_mul_lo_u32 v7, v6, v7
	v_add_co_u32_e32 v7, vcc, v9, v7
	v_addc_co_u32_e32 v9, vcc, 0, v10, vcc
	v_add_co_u32_e32 v1, vcc, v1, v7
	v_addc_co_u32_e32 v6, vcc, v6, v9, vcc
	v_mul_lo_u32 v7, s0, v6
	v_mul_hi_u32 v9, s0, v1
	v_add_u32_e32 v7, v9, v7
	v_mul_lo_u32 v9, s1, v1
	v_add_u32_e32 v7, v7, v9
	v_mul_lo_u32 v10, s0, v1
	v_mul_hi_u32 v11, v6, v10
	v_mul_lo_u32 v12, v6, v10
	v_mul_lo_u32 v14, v1, v7
	v_mul_hi_u32 v10, v1, v10
	v_mul_hi_u32 v13, v1, v7
	v_add_co_u32_e32 v10, vcc, v10, v14
	v_addc_co_u32_e32 v13, vcc, 0, v13, vcc
	v_add_co_u32_e32 v10, vcc, v10, v12
	v_mul_hi_u32 v9, v6, v7
	v_addc_co_u32_e32 v10, vcc, v13, v11, vcc
	v_addc_co_u32_e32 v9, vcc, 0, v9, vcc
	v_mul_lo_u32 v7, v6, v7
	v_add_co_u32_e32 v7, vcc, v10, v7
	v_addc_co_u32_e32 v9, vcc, 0, v9, vcc
	v_add_co_u32_e32 v1, vcc, v1, v7
	v_addc_co_u32_e32 v9, vcc, v6, v9, vcc
	v_mad_u64_u32 v[6:7], s[0:1], v5, v9, 0
	v_mul_hi_u32 v10, v5, v1
	v_add_co_u32_e32 v12, vcc, v10, v6
	v_addc_co_u32_e32 v13, vcc, 0, v7, vcc
	v_mad_u64_u32 v[10:11], s[0:1], v8, v1, 0
	v_add_co_u32_e32 v1, vcc, v12, v10
	v_mad_u64_u32 v[6:7], s[0:1], v8, v9, 0
	v_addc_co_u32_e32 v1, vcc, v13, v11, vcc
	v_addc_co_u32_e32 v7, vcc, 0, v7, vcc
	v_add_co_u32_e32 v1, vcc, v1, v6
	v_addc_co_u32_e32 v9, vcc, 0, v7, vcc
	v_mul_lo_u32 v10, s21, v1
	v_mul_lo_u32 v11, s20, v9
	v_mad_u64_u32 v[6:7], s[0:1], s20, v1, 0
	v_add3_u32 v7, v7, v11, v10
	v_sub_u32_e32 v10, v8, v7
	v_mov_b32_e32 v11, s21
	v_sub_co_u32_e32 v5, vcc, v5, v6
	v_subb_co_u32_e64 v6, s[0:1], v10, v11, vcc
	v_subrev_co_u32_e64 v10, s[0:1], s20, v5
	v_subbrev_co_u32_e64 v6, s[0:1], 0, v6, s[0:1]
	v_cmp_le_u32_e64 s[0:1], s21, v6
	v_cndmask_b32_e64 v11, 0, -1, s[0:1]
	v_cmp_le_u32_e64 s[0:1], s20, v10
	v_cndmask_b32_e64 v10, 0, -1, s[0:1]
	v_cmp_eq_u32_e64 s[0:1], s21, v6
	v_cndmask_b32_e64 v6, v11, v10, s[0:1]
	v_add_co_u32_e64 v10, s[0:1], 2, v1
	v_subb_co_u32_e32 v7, vcc, v8, v7, vcc
	v_addc_co_u32_e64 v11, s[0:1], 0, v9, s[0:1]
	v_cmp_le_u32_e32 vcc, s21, v7
	v_add_co_u32_e64 v12, s[0:1], 1, v1
	v_cndmask_b32_e64 v8, 0, -1, vcc
	v_cmp_le_u32_e32 vcc, s20, v5
	v_addc_co_u32_e64 v13, s[0:1], 0, v9, s[0:1]
	v_cndmask_b32_e64 v5, 0, -1, vcc
	v_cmp_eq_u32_e32 vcc, s21, v7
	v_cmp_ne_u32_e64 s[0:1], 0, v6
	v_cndmask_b32_e32 v5, v8, v5, vcc
	v_cndmask_b32_e64 v6, v13, v11, s[0:1]
	v_cmp_ne_u32_e32 vcc, 0, v5
	v_cndmask_b32_e64 v5, v12, v10, s[0:1]
	v_cndmask_b32_e32 v7, v9, v6, vcc
	v_cndmask_b32_e32 v6, v1, v5, vcc
                                        ; implicit-def: $vgpr5
.LBB36_3:
	s_or_saveexec_b64 s[0:1], s[2:3]
	s_load_dwordx4 s[12:15], s[4:5], 0x0
	s_xor_b64 exec, exec, s[0:1]
	s_cbranch_execz .LBB36_5
; %bb.4:
	v_cvt_f32_u32_e32 v1, s20
	s_sub_i32 s2, 0, s20
	v_rcp_iflag_f32_e32 v1, v1
	v_mul_f32_e32 v1, 0x4f7ffffe, v1
	v_cvt_u32_f32_e32 v1, v1
	v_mul_lo_u32 v6, s2, v1
	v_mul_hi_u32 v6, v1, v6
	v_add_u32_e32 v1, v1, v6
	v_mul_hi_u32 v1, v5, v1
	v_mul_lo_u32 v6, v1, s20
	v_sub_u32_e32 v5, v5, v6
	v_add_u32_e32 v7, 1, v1
	v_subrev_u32_e32 v6, s20, v5
	v_cmp_le_u32_e32 vcc, s20, v5
	v_cndmask_b32_e32 v5, v5, v6, vcc
	v_cndmask_b32_e32 v1, v1, v7, vcc
	v_add_u32_e32 v6, 1, v1
	v_cmp_le_u32_e32 vcc, s20, v5
	v_cndmask_b32_e32 v6, v1, v6, vcc
	v_mov_b32_e32 v7, 0
.LBB36_5:
	s_or_b64 exec, exec, s[0:1]
	s_load_dwordx4 s[16:19], s[4:5], 0x10
	v_add_co_u32_e32 v1, vcc, v6, v4
	v_addc_co_u32_e32 v4, vcc, 0, v7, vcc
	s_waitcnt lgkmcnt(0)
	s_lshl_b64 s[2:3], s[16:17], 1
	s_add_u32 s22, s2, -2
	v_add_co_u32_e32 v12, vcc, 1, v1
	s_addc_u32 s23, s3, -1
	v_addc_co_u32_e32 v13, vcc, 0, v4, vcc
	s_mov_b64 s[0:1], 0
	v_cmp_lt_i64_e64 s[28:29], s[22:23], 1
	v_cmp_gt_i64_e64 s[24:25], s[22:23], 0
	v_cmp_lt_u64_e32 vcc, 1, v[12:13]
                                        ; kill: def $vgpr4_vgpr5 killed $sgpr0_sgpr1 killed $exec
                                        ; implicit-def: $sgpr30_sgpr31
                                        ; implicit-def: $sgpr34_sgpr35
	s_and_saveexec_b64 s[2:3], vcc
	s_xor_b64 s[26:27], exec, s[2:3]
	s_cbranch_execz .LBB36_29
; %bb.6:
	v_mov_b32_e32 v1, s21
	v_add_co_u32_e32 v4, vcc, s20, v2
	v_addc_co_u32_e32 v5, vcc, v3, v1, vcc
	v_mov_b32_e32 v1, s19
	v_subrev_co_u32_e32 v0, vcc, s18, v0
	s_mul_hi_u32 s51, s52, s7
	v_subb_co_u32_e32 v1, vcc, 0, v1, vcc
	v_lshlrev_b64 v[6:7], 2, v[2:3]
	s_mul_hi_u32 s33, s7, s6
	s_mul_i32 s50, s7, s6
	s_add_i32 s51, s51, s36
	s_mul_i32 s52, s52, s7
	s_lshl_b64 s[6:7], s[20:21], 1
	s_xor_b64 s[42:43], s[28:29], -1
	v_mov_b32_e32 v8, s15
	v_add_co_u32_e32 v16, vcc, s14, v6
	v_and_b32_e32 v14, -2, v12
	v_mov_b32_e32 v15, v13
	s_sub_u32 s30, 0, s8
	v_addc_co_u32_e32 v17, vcc, v8, v7, vcc
	v_pk_mov_b32 v[6:7], v[4:5], v[4:5] op_sel:[0,1]
	s_mov_b32 s53, s6
	s_mov_b32 s54, s7
	;; [unrolled: 1-line block ×8, first 2 shown]
	s_mov_b64 s[40:41], 0
	s_subb_u32 s31, 0, s9
	s_lshl_b64 s[34:35], s[20:21], 2
	s_lshl_b64 s[44:45], s[20:21], 3
	v_mov_b32_e32 v18, 0
	v_pk_mov_b32 v[20:21], v[14:15], v[14:15] op_sel:[0,1]
	v_pk_mov_b32 v[4:5], v[2:3], v[2:3] op_sel:[0,1]
	s_branch .LBB36_9
.LBB36_7:                               ;   in Loop: Header=BB36_9 Depth=1
	s_or_b64 exec, exec, s[0:1]
.LBB36_8:                               ;   in Loop: Header=BB36_9 Depth=1
	v_ashrrev_i32_e32 v27, 31, v9
	v_and_b32_e32 v28, s23, v27
	v_and_b32_e32 v27, s22, v27
	v_ashrrev_i32_e32 v19, 31, v11
	v_add_co_u32_e32 v8, vcc, v27, v8
	v_and_b32_e32 v26, s56, v19
	v_and_b32_e32 v19, s55, v19
	v_addc_co_u32_e32 v9, vcc, v28, v9, vcc
	v_add_co_u32_e32 v10, vcc, v19, v10
	v_addc_co_u32_e32 v11, vcc, v26, v11, vcc
	v_mov_b32_e32 v19, s56
	v_sub_co_u32_e32 v26, vcc, s55, v10
	v_subb_co_u32_e32 v19, vcc, v19, v11, vcc
	v_mov_b32_e32 v27, s23
	v_sub_co_u32_e32 v28, vcc, s22, v8
	v_subb_co_u32_e32 v27, vcc, v27, v9, vcc
	v_cmp_gt_i64_e32 vcc, s[36:37], v[8:9]
	v_cndmask_b32_e32 v28, v28, v8, vcc
	v_cndmask_b32_e32 v27, v27, v9, vcc
	v_cmp_gt_i64_e32 vcc, s[38:39], v[10:11]
	v_cndmask_b32_e32 v8, v26, v10, vcc
	v_cndmask_b32_e32 v9, v19, v11, vcc
	v_mul_lo_u32 v19, v25, s38
	v_mul_lo_u32 v26, v24, s39
	v_mad_u64_u32 v[24:25], s[0:1], v24, s38, 0
	v_add3_u32 v25, v25, v26, v19
	v_mul_lo_u32 v19, v23, s36
	v_mul_lo_u32 v26, v22, s37
	v_mad_u64_u32 v[22:23], s[0:1], v22, s36, 0
	v_add3_u32 v23, v23, v26, v19
	v_lshlrev_b64 v[22:23], 2, v[22:23]
	v_mov_b32_e32 v19, s13
	v_add_co_u32_e32 v26, vcc, s12, v22
	v_cndmask_b32_e64 v11, v27, 0, s[28:29]
	v_addc_co_u32_e32 v27, vcc, v19, v23, vcc
	v_lshlrev_b64 v[22:23], 2, v[24:25]
	v_cndmask_b32_e64 v10, v28, 0, s[28:29]
	v_add_co_u32_e32 v22, vcc, s12, v22
	v_addc_co_u32_e32 v19, vcc, v19, v23, vcc
	v_lshlrev_b64 v[10:11], 2, v[10:11]
	v_cndmask_b32_e64 v9, v9, 0, s[28:29]
	v_cndmask_b32_e64 v8, v8, 0, s[28:29]
	v_add_co_u32_e32 v10, vcc, v26, v10
	v_addc_co_u32_e32 v11, vcc, v27, v11, vcc
	v_lshlrev_b64 v[8:9], 2, v[8:9]
	v_add_co_u32_e32 v8, vcc, v22, v8
	v_addc_co_u32_e32 v9, vcc, v19, v9, vcc
	global_load_dword v19, v[10:11], off
	global_load_dword v22, v[8:9], off
	v_add_co_u32_e32 v20, vcc, -2, v20
	v_addc_co_u32_e32 v21, vcc, -1, v21, vcc
	v_mov_b32_e32 v9, s35
	v_add_co_u32_e32 v8, vcc, s34, v16
	v_addc_co_u32_e32 v9, vcc, v17, v9, vcc
	v_mov_b32_e32 v10, s54
	v_add_co_u32_e32 v6, vcc, s53, v6
	v_addc_co_u32_e32 v7, vcc, v7, v10, vcc
	;; [unrolled: 3-line block ×4, first 2 shown]
	v_cmp_eq_u64_e32 vcc, 0, v[20:21]
	s_or_b64 s[40:41], vcc, s[40:41]
	s_waitcnt vmcnt(1)
	global_store_dword v[16:17], v19, off
	s_waitcnt vmcnt(1)
	global_store_dword v[8:9], v22, off
	v_mov_b32_e32 v8, s45
	v_add_co_u32_e32 v16, vcc, s44, v16
	v_addc_co_u32_e32 v17, vcc, v17, v8, vcc
	s_andn2_b64 exec, exec, s[40:41]
	s_cbranch_execz .LBB36_28
.LBB36_9:                               ; =>This Inner Loop Header: Depth=1
	v_or_b32_e32 v19, s9, v5
	v_cmp_ne_u64_e32 vcc, 0, v[18:19]
                                        ; implicit-def: $vgpr22_vgpr23
	s_and_saveexec_b64 s[0:1], vcc
	s_xor_b64 s[2:3], exec, s[0:1]
	s_cbranch_execz .LBB36_11
; %bb.10:                               ;   in Loop: Header=BB36_9 Depth=1
	s_ashr_i32 s4, s9, 31
	s_add_u32 s0, s8, s4
	s_mov_b32 s5, s4
	s_addc_u32 s1, s9, s4
	s_xor_b64 s[46:47], s[0:1], s[4:5]
	v_cvt_f32_u32_e32 v8, s46
	v_cvt_f32_u32_e32 v9, s47
	s_sub_u32 s0, 0, s46
	s_subb_u32 s1, 0, s47
	v_mac_f32_e32 v8, 0x4f800000, v9
	v_rcp_f32_e32 v8, v8
	v_mul_f32_e32 v8, 0x5f7ffffc, v8
	v_mul_f32_e32 v9, 0x2f800000, v8
	v_trunc_f32_e32 v9, v9
	v_mac_f32_e32 v8, 0xcf800000, v9
	v_cvt_u32_f32_e32 v9, v9
	v_cvt_u32_f32_e32 v8, v8
	v_mul_lo_u32 v10, s0, v9
	v_mul_hi_u32 v19, s0, v8
	v_mul_lo_u32 v11, s1, v8
	v_add_u32_e32 v10, v19, v10
	v_mul_lo_u32 v22, s0, v8
	v_add_u32_e32 v10, v10, v11
	v_mul_lo_u32 v19, v8, v10
	v_mul_hi_u32 v23, v8, v22
	v_mul_hi_u32 v11, v8, v10
	v_add_co_u32_e32 v19, vcc, v23, v19
	v_addc_co_u32_e32 v11, vcc, 0, v11, vcc
	v_mul_hi_u32 v24, v9, v22
	v_mul_lo_u32 v22, v9, v22
	v_add_co_u32_e32 v19, vcc, v19, v22
	v_mul_hi_u32 v23, v9, v10
	v_addc_co_u32_e32 v11, vcc, v11, v24, vcc
	v_addc_co_u32_e32 v19, vcc, 0, v23, vcc
	v_mul_lo_u32 v10, v9, v10
	v_add_co_u32_e32 v10, vcc, v11, v10
	v_addc_co_u32_e32 v11, vcc, 0, v19, vcc
	v_add_co_u32_e32 v8, vcc, v8, v10
	v_addc_co_u32_e32 v9, vcc, v9, v11, vcc
	v_mul_lo_u32 v10, s0, v9
	v_mul_hi_u32 v11, s0, v8
	v_add_u32_e32 v10, v11, v10
	v_mul_lo_u32 v11, s1, v8
	v_add_u32_e32 v10, v10, v11
	v_mul_lo_u32 v19, s0, v8
	v_mul_hi_u32 v22, v9, v19
	v_mul_lo_u32 v23, v9, v19
	v_mul_lo_u32 v25, v8, v10
	v_mul_hi_u32 v19, v8, v19
	v_mul_hi_u32 v24, v8, v10
	v_add_co_u32_e32 v19, vcc, v19, v25
	v_addc_co_u32_e32 v24, vcc, 0, v24, vcc
	v_add_co_u32_e32 v19, vcc, v19, v23
	v_mul_hi_u32 v11, v9, v10
	v_addc_co_u32_e32 v19, vcc, v24, v22, vcc
	v_addc_co_u32_e32 v11, vcc, 0, v11, vcc
	v_mul_lo_u32 v10, v9, v10
	v_add_co_u32_e32 v10, vcc, v19, v10
	v_addc_co_u32_e32 v11, vcc, 0, v11, vcc
	v_add_co_u32_e32 v10, vcc, v8, v10
	v_addc_co_u32_e32 v11, vcc, v9, v11, vcc
	v_ashrrev_i32_e32 v19, 31, v5
	v_add_co_u32_e32 v8, vcc, v4, v19
	v_addc_co_u32_e32 v9, vcc, v5, v19, vcc
	v_xor_b32_e32 v23, v8, v19
	v_xor_b32_e32 v22, v9, v19
	v_mad_u64_u32 v[8:9], s[0:1], v23, v11, 0
	v_mul_hi_u32 v24, v23, v10
	v_add_co_u32_e32 v24, vcc, v24, v8
	v_addc_co_u32_e32 v25, vcc, 0, v9, vcc
	v_mad_u64_u32 v[8:9], s[0:1], v22, v11, 0
	v_mad_u64_u32 v[10:11], s[0:1], v22, v10, 0
	v_add_co_u32_e32 v10, vcc, v24, v10
	v_addc_co_u32_e32 v10, vcc, v25, v11, vcc
	v_addc_co_u32_e32 v9, vcc, 0, v9, vcc
	v_add_co_u32_e32 v10, vcc, v10, v8
	v_addc_co_u32_e32 v11, vcc, 0, v9, vcc
	v_mul_lo_u32 v24, s47, v10
	v_mul_lo_u32 v25, s46, v11
	v_mad_u64_u32 v[8:9], s[0:1], s46, v10, 0
	v_add3_u32 v9, v9, v25, v24
	v_sub_u32_e32 v24, v22, v9
	v_mov_b32_e32 v25, s47
	v_sub_co_u32_e32 v8, vcc, v23, v8
	v_subb_co_u32_e64 v23, s[0:1], v24, v25, vcc
	v_subrev_co_u32_e64 v24, s[0:1], s46, v8
	v_subbrev_co_u32_e64 v23, s[0:1], 0, v23, s[0:1]
	v_cmp_le_u32_e64 s[0:1], s47, v23
	v_cndmask_b32_e64 v25, 0, -1, s[0:1]
	v_cmp_le_u32_e64 s[0:1], s46, v24
	v_cndmask_b32_e64 v24, 0, -1, s[0:1]
	v_cmp_eq_u32_e64 s[0:1], s47, v23
	v_cndmask_b32_e64 v23, v25, v24, s[0:1]
	v_add_co_u32_e64 v24, s[0:1], 2, v10
	v_subb_co_u32_e32 v9, vcc, v22, v9, vcc
	v_addc_co_u32_e64 v25, s[0:1], 0, v11, s[0:1]
	v_cmp_le_u32_e32 vcc, s47, v9
	v_add_co_u32_e64 v26, s[0:1], 1, v10
	v_cndmask_b32_e64 v22, 0, -1, vcc
	v_cmp_le_u32_e32 vcc, s46, v8
	v_addc_co_u32_e64 v27, s[0:1], 0, v11, s[0:1]
	v_cndmask_b32_e64 v8, 0, -1, vcc
	v_cmp_eq_u32_e32 vcc, s47, v9
	v_cmp_ne_u32_e64 s[0:1], 0, v23
	v_cndmask_b32_e32 v8, v22, v8, vcc
	v_cmp_ne_u32_e32 vcc, 0, v8
	v_cndmask_b32_e64 v9, v26, v24, s[0:1]
	v_cndmask_b32_e64 v23, v27, v25, s[0:1]
	v_cndmask_b32_e32 v9, v10, v9, vcc
	v_xor_b32_e32 v10, s4, v19
	v_cndmask_b32_e32 v8, v11, v23, vcc
	v_xor_b32_e32 v9, v9, v10
	v_xor_b32_e32 v8, v8, v10
	v_sub_co_u32_e32 v22, vcc, v9, v10
	v_subb_co_u32_e32 v23, vcc, v8, v10, vcc
.LBB36_11:                              ;   in Loop: Header=BB36_9 Depth=1
	s_or_saveexec_b64 s[0:1], s[2:3]
	v_cvt_f32_u32_e32 v8, s8
	v_rcp_iflag_f32_e32 v8, v8
	s_xor_b64 exec, exec, s[0:1]
	s_cbranch_execz .LBB36_13
; %bb.12:                               ;   in Loop: Header=BB36_9 Depth=1
	v_mul_f32_e32 v9, 0x4f7ffffe, v8
	v_cvt_u32_f32_e32 v9, v9
	s_sub_i32 s2, 0, s8
	v_mov_b32_e32 v23, v18
	v_mul_lo_u32 v10, s2, v9
	v_mul_hi_u32 v10, v9, v10
	v_add_u32_e32 v9, v9, v10
	v_mul_hi_u32 v9, v4, v9
	v_mul_lo_u32 v10, v9, s8
	v_sub_u32_e32 v10, v4, v10
	v_add_u32_e32 v11, 1, v9
	v_subrev_u32_e32 v19, s8, v10
	v_cmp_le_u32_e32 vcc, s8, v10
	v_cndmask_b32_e32 v10, v10, v19, vcc
	v_cndmask_b32_e32 v9, v9, v11, vcc
	v_add_u32_e32 v11, 1, v9
	v_cmp_le_u32_e32 vcc, s8, v10
	v_cndmask_b32_e32 v22, v9, v11, vcc
.LBB36_13:                              ;   in Loop: Header=BB36_9 Depth=1
	s_or_b64 exec, exec, s[0:1]
	v_or_b32_e32 v19, s9, v7
	v_cmp_ne_u64_e32 vcc, 0, v[18:19]
                                        ; implicit-def: $vgpr24_vgpr25
	s_and_saveexec_b64 s[0:1], vcc
	s_xor_b64 s[2:3], exec, s[0:1]
	s_cbranch_execz .LBB36_15
; %bb.14:                               ;   in Loop: Header=BB36_9 Depth=1
	s_ashr_i32 s4, s9, 31
	s_add_u32 s0, s8, s4
	s_mov_b32 s5, s4
	s_addc_u32 s1, s9, s4
	s_xor_b64 s[46:47], s[0:1], s[4:5]
	v_cvt_f32_u32_e32 v8, s46
	v_cvt_f32_u32_e32 v9, s47
	s_sub_u32 s0, 0, s46
	s_subb_u32 s1, 0, s47
	v_mac_f32_e32 v8, 0x4f800000, v9
	v_rcp_f32_e32 v8, v8
	v_mul_f32_e32 v8, 0x5f7ffffc, v8
	v_mul_f32_e32 v9, 0x2f800000, v8
	v_trunc_f32_e32 v9, v9
	v_mac_f32_e32 v8, 0xcf800000, v9
	v_cvt_u32_f32_e32 v9, v9
	v_cvt_u32_f32_e32 v8, v8
	v_mul_lo_u32 v10, s0, v9
	v_mul_hi_u32 v19, s0, v8
	v_mul_lo_u32 v11, s1, v8
	v_add_u32_e32 v10, v19, v10
	v_mul_lo_u32 v24, s0, v8
	v_add_u32_e32 v10, v10, v11
	v_mul_lo_u32 v19, v8, v10
	v_mul_hi_u32 v25, v8, v24
	v_mul_hi_u32 v11, v8, v10
	v_add_co_u32_e32 v19, vcc, v25, v19
	v_addc_co_u32_e32 v11, vcc, 0, v11, vcc
	v_mul_hi_u32 v26, v9, v24
	v_mul_lo_u32 v24, v9, v24
	v_add_co_u32_e32 v19, vcc, v19, v24
	v_mul_hi_u32 v25, v9, v10
	v_addc_co_u32_e32 v11, vcc, v11, v26, vcc
	v_addc_co_u32_e32 v19, vcc, 0, v25, vcc
	v_mul_lo_u32 v10, v9, v10
	v_add_co_u32_e32 v10, vcc, v11, v10
	v_addc_co_u32_e32 v11, vcc, 0, v19, vcc
	v_add_co_u32_e32 v8, vcc, v8, v10
	v_addc_co_u32_e32 v9, vcc, v9, v11, vcc
	v_mul_lo_u32 v10, s0, v9
	v_mul_hi_u32 v11, s0, v8
	v_add_u32_e32 v10, v11, v10
	v_mul_lo_u32 v11, s1, v8
	v_add_u32_e32 v10, v10, v11
	v_mul_lo_u32 v19, s0, v8
	v_mul_hi_u32 v24, v9, v19
	v_mul_lo_u32 v25, v9, v19
	v_mul_lo_u32 v27, v8, v10
	v_mul_hi_u32 v19, v8, v19
	v_mul_hi_u32 v26, v8, v10
	v_add_co_u32_e32 v19, vcc, v19, v27
	v_addc_co_u32_e32 v26, vcc, 0, v26, vcc
	v_add_co_u32_e32 v19, vcc, v19, v25
	v_mul_hi_u32 v11, v9, v10
	v_addc_co_u32_e32 v19, vcc, v26, v24, vcc
	v_addc_co_u32_e32 v11, vcc, 0, v11, vcc
	v_mul_lo_u32 v10, v9, v10
	v_add_co_u32_e32 v10, vcc, v19, v10
	v_addc_co_u32_e32 v11, vcc, 0, v11, vcc
	v_add_co_u32_e32 v10, vcc, v8, v10
	v_addc_co_u32_e32 v11, vcc, v9, v11, vcc
	v_ashrrev_i32_e32 v19, 31, v7
	v_add_co_u32_e32 v8, vcc, v6, v19
	v_addc_co_u32_e32 v9, vcc, v7, v19, vcc
	v_xor_b32_e32 v25, v8, v19
	v_xor_b32_e32 v24, v9, v19
	v_mad_u64_u32 v[8:9], s[0:1], v25, v11, 0
	v_mul_hi_u32 v26, v25, v10
	v_add_co_u32_e32 v26, vcc, v26, v8
	v_addc_co_u32_e32 v27, vcc, 0, v9, vcc
	v_mad_u64_u32 v[8:9], s[0:1], v24, v11, 0
	v_mad_u64_u32 v[10:11], s[0:1], v24, v10, 0
	v_add_co_u32_e32 v10, vcc, v26, v10
	v_addc_co_u32_e32 v10, vcc, v27, v11, vcc
	v_addc_co_u32_e32 v9, vcc, 0, v9, vcc
	v_add_co_u32_e32 v10, vcc, v10, v8
	v_addc_co_u32_e32 v11, vcc, 0, v9, vcc
	v_mul_lo_u32 v26, s47, v10
	v_mul_lo_u32 v27, s46, v11
	v_mad_u64_u32 v[8:9], s[0:1], s46, v10, 0
	v_add3_u32 v9, v9, v27, v26
	v_sub_u32_e32 v26, v24, v9
	v_mov_b32_e32 v27, s47
	v_sub_co_u32_e32 v8, vcc, v25, v8
	v_subb_co_u32_e64 v25, s[0:1], v26, v27, vcc
	v_subrev_co_u32_e64 v26, s[0:1], s46, v8
	v_subbrev_co_u32_e64 v25, s[0:1], 0, v25, s[0:1]
	v_cmp_le_u32_e64 s[0:1], s47, v25
	v_cndmask_b32_e64 v27, 0, -1, s[0:1]
	v_cmp_le_u32_e64 s[0:1], s46, v26
	v_cndmask_b32_e64 v26, 0, -1, s[0:1]
	v_cmp_eq_u32_e64 s[0:1], s47, v25
	v_cndmask_b32_e64 v25, v27, v26, s[0:1]
	v_add_co_u32_e64 v26, s[0:1], 2, v10
	v_subb_co_u32_e32 v9, vcc, v24, v9, vcc
	v_addc_co_u32_e64 v27, s[0:1], 0, v11, s[0:1]
	v_cmp_le_u32_e32 vcc, s47, v9
	v_add_co_u32_e64 v28, s[0:1], 1, v10
	v_cndmask_b32_e64 v24, 0, -1, vcc
	v_cmp_le_u32_e32 vcc, s46, v8
	v_addc_co_u32_e64 v29, s[0:1], 0, v11, s[0:1]
	v_cndmask_b32_e64 v8, 0, -1, vcc
	v_cmp_eq_u32_e32 vcc, s47, v9
	v_cmp_ne_u32_e64 s[0:1], 0, v25
	v_cndmask_b32_e32 v8, v24, v8, vcc
	v_cmp_ne_u32_e32 vcc, 0, v8
	v_cndmask_b32_e64 v9, v28, v26, s[0:1]
	v_cndmask_b32_e64 v25, v29, v27, s[0:1]
	v_cndmask_b32_e32 v9, v10, v9, vcc
	v_xor_b32_e32 v10, s4, v19
	v_cndmask_b32_e32 v8, v11, v25, vcc
	v_xor_b32_e32 v9, v9, v10
	v_xor_b32_e32 v8, v8, v10
	v_sub_co_u32_e32 v24, vcc, v9, v10
	v_subb_co_u32_e32 v25, vcc, v8, v10, vcc
                                        ; implicit-def: $vgpr8
.LBB36_15:                              ;   in Loop: Header=BB36_9 Depth=1
	s_andn2_saveexec_b64 s[0:1], s[2:3]
	s_cbranch_execz .LBB36_17
; %bb.16:                               ;   in Loop: Header=BB36_9 Depth=1
	v_mul_f32_e32 v8, 0x4f7ffffe, v8
	v_cvt_u32_f32_e32 v8, v8
	s_sub_i32 s2, 0, s8
	v_mov_b32_e32 v25, v18
	v_mul_lo_u32 v9, s2, v8
	v_mul_hi_u32 v9, v8, v9
	v_add_u32_e32 v8, v8, v9
	v_mul_hi_u32 v8, v6, v8
	v_mul_lo_u32 v9, v8, s8
	v_sub_u32_e32 v9, v6, v9
	v_add_u32_e32 v10, 1, v8
	v_subrev_u32_e32 v11, s8, v9
	v_cmp_le_u32_e32 vcc, s8, v9
	v_cndmask_b32_e32 v9, v9, v11, vcc
	v_cndmask_b32_e32 v8, v8, v10, vcc
	v_add_u32_e32 v10, 1, v8
	v_cmp_le_u32_e32 vcc, s8, v9
	v_cndmask_b32_e32 v24, v8, v10, vcc
.LBB36_17:                              ;   in Loop: Header=BB36_9 Depth=1
	s_or_b64 exec, exec, s[0:1]
	v_cndmask_b32_e64 v8, 0, 1, s[42:43]
	v_cmp_ne_u32_e64 s[0:1], 1, v8
	s_andn2_b64 vcc, exec, s[42:43]
                                        ; implicit-def: $vgpr8_vgpr9_vgpr10_vgpr11
	s_cbranch_vccnz .LBB36_23
; %bb.18:                               ;   in Loop: Header=BB36_9 Depth=1
	v_mov_b32_e32 v9, s33
	v_add_co_u32_e32 v8, vcc, s50, v0
	v_addc_co_u32_e32 v9, vcc, v9, v1, vcc
	v_mul_lo_u32 v19, s30, v23
	v_mul_lo_u32 v26, s31, v22
	v_mad_u64_u32 v[10:11], s[2:3], s30, v22, v[8:9]
	v_add3_u32 v11, v26, v11, v19
	v_or_b32_e32 v19, s23, v11
	v_cmp_ne_u64_e32 vcc, 0, v[18:19]
                                        ; implicit-def: $vgpr8_vgpr9
	s_and_saveexec_b64 s[2:3], vcc
	s_xor_b64 s[46:47], exec, s[2:3]
	s_cbranch_execz .LBB36_20
; %bb.19:                               ;   in Loop: Header=BB36_9 Depth=1
	s_ashr_i32 s2, s23, 31
	s_add_u32 s4, s22, s2
	s_mov_b32 s3, s2
	s_addc_u32 s5, s23, s2
	s_xor_b64 s[48:49], s[4:5], s[2:3]
	v_cvt_f32_u32_e32 v8, s48
	v_cvt_f32_u32_e32 v9, s49
	s_sub_u32 s2, 0, s48
	s_subb_u32 s3, 0, s49
	v_mac_f32_e32 v8, 0x4f800000, v9
	v_rcp_f32_e32 v8, v8
	v_mul_f32_e32 v8, 0x5f7ffffc, v8
	v_mul_f32_e32 v9, 0x2f800000, v8
	v_trunc_f32_e32 v9, v9
	v_mac_f32_e32 v8, 0xcf800000, v9
	v_cvt_u32_f32_e32 v9, v9
	v_cvt_u32_f32_e32 v8, v8
	v_mul_lo_u32 v19, s2, v9
	v_mul_hi_u32 v27, s2, v8
	v_mul_lo_u32 v26, s3, v8
	v_add_u32_e32 v19, v27, v19
	v_mul_lo_u32 v28, s2, v8
	v_add_u32_e32 v19, v19, v26
	v_mul_lo_u32 v27, v8, v19
	v_mul_hi_u32 v29, v8, v28
	v_mul_hi_u32 v26, v8, v19
	v_add_co_u32_e32 v27, vcc, v29, v27
	v_addc_co_u32_e32 v26, vcc, 0, v26, vcc
	v_mul_hi_u32 v30, v9, v28
	v_mul_lo_u32 v28, v9, v28
	v_add_co_u32_e32 v27, vcc, v27, v28
	v_mul_hi_u32 v29, v9, v19
	v_addc_co_u32_e32 v26, vcc, v26, v30, vcc
	v_addc_co_u32_e32 v27, vcc, 0, v29, vcc
	v_mul_lo_u32 v19, v9, v19
	v_add_co_u32_e32 v19, vcc, v26, v19
	v_addc_co_u32_e32 v26, vcc, 0, v27, vcc
	v_add_co_u32_e32 v8, vcc, v8, v19
	v_addc_co_u32_e32 v9, vcc, v9, v26, vcc
	v_mul_lo_u32 v19, s2, v9
	v_mul_hi_u32 v26, s2, v8
	v_add_u32_e32 v19, v26, v19
	v_mul_lo_u32 v26, s3, v8
	v_add_u32_e32 v19, v19, v26
	v_mul_lo_u32 v27, s2, v8
	v_mul_hi_u32 v28, v9, v27
	v_mul_lo_u32 v29, v9, v27
	v_mul_lo_u32 v31, v8, v19
	v_mul_hi_u32 v27, v8, v27
	v_mul_hi_u32 v30, v8, v19
	v_add_co_u32_e32 v27, vcc, v27, v31
	v_addc_co_u32_e32 v30, vcc, 0, v30, vcc
	v_add_co_u32_e32 v27, vcc, v27, v29
	v_mul_hi_u32 v26, v9, v19
	v_addc_co_u32_e32 v27, vcc, v30, v28, vcc
	v_addc_co_u32_e32 v26, vcc, 0, v26, vcc
	v_mul_lo_u32 v19, v9, v19
	v_add_co_u32_e32 v19, vcc, v27, v19
	v_addc_co_u32_e32 v26, vcc, 0, v26, vcc
	v_add_co_u32_e32 v19, vcc, v8, v19
	v_addc_co_u32_e32 v26, vcc, v9, v26, vcc
	v_ashrrev_i32_e32 v27, 31, v11
	v_add_co_u32_e32 v8, vcc, v10, v27
	v_addc_co_u32_e32 v9, vcc, v11, v27, vcc
	v_xor_b32_e32 v29, v8, v27
	v_xor_b32_e32 v28, v9, v27
	v_mad_u64_u32 v[8:9], s[2:3], v29, v26, 0
	v_mul_hi_u32 v10, v29, v19
	v_add_co_u32_e32 v30, vcc, v10, v8
	v_addc_co_u32_e32 v31, vcc, 0, v9, vcc
	v_mad_u64_u32 v[10:11], s[2:3], v28, v19, 0
	v_add_co_u32_e32 v10, vcc, v30, v10
	v_mad_u64_u32 v[8:9], s[2:3], v28, v26, 0
	v_addc_co_u32_e32 v10, vcc, v31, v11, vcc
	v_addc_co_u32_e32 v9, vcc, 0, v9, vcc
	v_add_co_u32_e32 v8, vcc, v10, v8
	v_addc_co_u32_e32 v9, vcc, 0, v9, vcc
	v_mul_lo_u32 v10, s49, v8
	v_mul_lo_u32 v11, s48, v9
	v_mad_u64_u32 v[8:9], s[2:3], s48, v8, 0
	v_add3_u32 v9, v9, v11, v10
	v_sub_u32_e32 v10, v28, v9
	v_mov_b32_e32 v11, s49
	v_sub_co_u32_e32 v8, vcc, v29, v8
	v_subb_co_u32_e64 v10, s[2:3], v10, v11, vcc
	v_subrev_co_u32_e64 v19, s[2:3], s48, v8
	v_subbrev_co_u32_e64 v26, s[4:5], 0, v10, s[2:3]
	v_cmp_le_u32_e64 s[4:5], s49, v26
	v_cndmask_b32_e64 v29, 0, -1, s[4:5]
	v_cmp_le_u32_e64 s[4:5], s48, v19
	v_subb_co_u32_e64 v10, s[2:3], v10, v11, s[2:3]
	v_cndmask_b32_e64 v30, 0, -1, s[4:5]
	v_cmp_eq_u32_e64 s[4:5], s49, v26
	v_subrev_co_u32_e64 v11, s[2:3], s48, v19
	v_cndmask_b32_e64 v29, v29, v30, s[4:5]
	v_subbrev_co_u32_e64 v10, s[2:3], 0, v10, s[2:3]
	v_subb_co_u32_e32 v9, vcc, v28, v9, vcc
	v_cmp_ne_u32_e64 s[2:3], 0, v29
	v_cmp_le_u32_e32 vcc, s49, v9
	v_cndmask_b32_e64 v10, v26, v10, s[2:3]
	v_cndmask_b32_e64 v26, 0, -1, vcc
	v_cmp_le_u32_e32 vcc, s48, v8
	v_cndmask_b32_e64 v28, 0, -1, vcc
	v_cmp_eq_u32_e32 vcc, s49, v9
	v_cndmask_b32_e32 v26, v26, v28, vcc
	v_cmp_ne_u32_e32 vcc, 0, v26
	v_cndmask_b32_e32 v9, v9, v10, vcc
	v_cndmask_b32_e64 v10, v19, v11, s[2:3]
	v_cndmask_b32_e32 v8, v8, v10, vcc
	v_xor_b32_e32 v8, v8, v27
	v_xor_b32_e32 v9, v9, v27
	v_sub_co_u32_e32 v8, vcc, v8, v27
	v_subb_co_u32_e32 v9, vcc, v9, v27, vcc
                                        ; implicit-def: $vgpr10_vgpr11
.LBB36_20:                              ;   in Loop: Header=BB36_9 Depth=1
	s_andn2_saveexec_b64 s[2:3], s[46:47]
	s_cbranch_execz .LBB36_22
; %bb.21:                               ;   in Loop: Header=BB36_9 Depth=1
	v_cvt_f32_u32_e32 v8, s22
	s_sub_i32 s4, 0, s22
	v_rcp_iflag_f32_e32 v8, v8
	v_mul_f32_e32 v8, 0x4f7ffffe, v8
	v_cvt_u32_f32_e32 v8, v8
	v_mul_lo_u32 v9, s4, v8
	v_mul_hi_u32 v9, v8, v9
	v_add_u32_e32 v8, v8, v9
	v_mul_hi_u32 v8, v10, v8
	v_mul_lo_u32 v8, v8, s22
	v_sub_u32_e32 v8, v10, v8
	v_subrev_u32_e32 v9, s22, v8
	v_cmp_le_u32_e32 vcc, s22, v8
	v_cndmask_b32_e32 v8, v8, v9, vcc
	v_subrev_u32_e32 v9, s22, v8
	v_cmp_le_u32_e32 vcc, s22, v8
	v_cndmask_b32_e32 v8, v8, v9, vcc
	v_mov_b32_e32 v9, v18
.LBB36_22:                              ;   in Loop: Header=BB36_9 Depth=1
	s_or_b64 exec, exec, s[2:3]
                                        ; kill: def $vgpr10 killed $sgpr0 killed $exec
.LBB36_23:                              ;   in Loop: Header=BB36_9 Depth=1
	s_and_b64 vcc, exec, s[0:1]
	s_cbranch_vccnz .LBB36_8
; %bb.24:                               ;   in Loop: Header=BB36_9 Depth=1
	v_mov_b32_e32 v11, s51
	v_add_co_u32_e32 v10, vcc, s52, v0
	v_addc_co_u32_e32 v11, vcc, v11, v1, vcc
	v_mul_lo_u32 v19, s30, v25
	v_mul_lo_u32 v28, s31, v24
	v_mad_u64_u32 v[26:27], s[0:1], s30, v24, v[10:11]
	v_add3_u32 v27, v28, v27, v19
	v_or_b32_e32 v19, s23, v27
	v_cmp_ne_u64_e32 vcc, 0, v[18:19]
                                        ; kill: def $vgpr10_vgpr11 killed $sgpr0_sgpr1 killed $exec
	s_and_saveexec_b64 s[0:1], vcc
	s_xor_b64 s[4:5], exec, s[0:1]
	s_cbranch_execz .LBB36_26
; %bb.25:                               ;   in Loop: Header=BB36_9 Depth=1
	s_ashr_i32 s0, s23, 31
	s_add_u32 s2, s22, s0
	s_mov_b32 s1, s0
	s_addc_u32 s3, s23, s0
	s_xor_b64 s[46:47], s[2:3], s[0:1]
	v_cvt_f32_u32_e32 v10, s46
	v_cvt_f32_u32_e32 v11, s47
	s_sub_u32 s0, 0, s46
	s_subb_u32 s1, 0, s47
	v_mac_f32_e32 v10, 0x4f800000, v11
	v_rcp_f32_e32 v10, v10
	v_mul_f32_e32 v10, 0x5f7ffffc, v10
	v_mul_f32_e32 v11, 0x2f800000, v10
	v_trunc_f32_e32 v11, v11
	v_mac_f32_e32 v10, 0xcf800000, v11
	v_cvt_u32_f32_e32 v11, v11
	v_cvt_u32_f32_e32 v10, v10
	v_mul_lo_u32 v19, s0, v11
	v_mul_hi_u32 v29, s0, v10
	v_mul_lo_u32 v28, s1, v10
	v_add_u32_e32 v19, v29, v19
	v_mul_lo_u32 v30, s0, v10
	v_add_u32_e32 v19, v19, v28
	v_mul_lo_u32 v29, v10, v19
	v_mul_hi_u32 v31, v10, v30
	v_mul_hi_u32 v28, v10, v19
	v_add_co_u32_e32 v29, vcc, v31, v29
	v_addc_co_u32_e32 v28, vcc, 0, v28, vcc
	v_mul_hi_u32 v32, v11, v30
	v_mul_lo_u32 v30, v11, v30
	v_add_co_u32_e32 v29, vcc, v29, v30
	v_mul_hi_u32 v31, v11, v19
	v_addc_co_u32_e32 v28, vcc, v28, v32, vcc
	v_addc_co_u32_e32 v29, vcc, 0, v31, vcc
	v_mul_lo_u32 v19, v11, v19
	v_add_co_u32_e32 v19, vcc, v28, v19
	v_addc_co_u32_e32 v28, vcc, 0, v29, vcc
	v_add_co_u32_e32 v10, vcc, v10, v19
	v_addc_co_u32_e32 v11, vcc, v11, v28, vcc
	v_mul_lo_u32 v19, s0, v11
	v_mul_hi_u32 v28, s0, v10
	v_add_u32_e32 v19, v28, v19
	v_mul_lo_u32 v28, s1, v10
	v_add_u32_e32 v19, v19, v28
	v_mul_lo_u32 v29, s0, v10
	v_mul_hi_u32 v30, v11, v29
	v_mul_lo_u32 v31, v11, v29
	v_mul_lo_u32 v33, v10, v19
	v_mul_hi_u32 v29, v10, v29
	v_mul_hi_u32 v32, v10, v19
	v_add_co_u32_e32 v29, vcc, v29, v33
	v_addc_co_u32_e32 v32, vcc, 0, v32, vcc
	v_add_co_u32_e32 v29, vcc, v29, v31
	v_mul_hi_u32 v28, v11, v19
	v_addc_co_u32_e32 v29, vcc, v32, v30, vcc
	v_addc_co_u32_e32 v28, vcc, 0, v28, vcc
	v_mul_lo_u32 v19, v11, v19
	v_add_co_u32_e32 v19, vcc, v29, v19
	v_addc_co_u32_e32 v28, vcc, 0, v28, vcc
	v_add_co_u32_e32 v19, vcc, v10, v19
	v_addc_co_u32_e32 v28, vcc, v11, v28, vcc
	v_ashrrev_i32_e32 v29, 31, v27
	v_add_co_u32_e32 v10, vcc, v26, v29
	v_addc_co_u32_e32 v11, vcc, v27, v29, vcc
	v_xor_b32_e32 v31, v10, v29
	v_xor_b32_e32 v30, v11, v29
	v_mad_u64_u32 v[10:11], s[0:1], v31, v28, 0
	v_mul_hi_u32 v26, v31, v19
	v_add_co_u32_e32 v32, vcc, v26, v10
	v_addc_co_u32_e32 v33, vcc, 0, v11, vcc
	v_mad_u64_u32 v[26:27], s[0:1], v30, v19, 0
	v_add_co_u32_e32 v19, vcc, v32, v26
	v_mad_u64_u32 v[10:11], s[0:1], v30, v28, 0
	v_addc_co_u32_e32 v19, vcc, v33, v27, vcc
	v_addc_co_u32_e32 v11, vcc, 0, v11, vcc
	v_add_co_u32_e32 v10, vcc, v19, v10
	v_addc_co_u32_e32 v11, vcc, 0, v11, vcc
	v_mul_lo_u32 v19, s47, v10
	v_mul_lo_u32 v26, s46, v11
	v_mad_u64_u32 v[10:11], s[0:1], s46, v10, 0
	v_add3_u32 v11, v11, v26, v19
	v_sub_u32_e32 v19, v30, v11
	v_mov_b32_e32 v26, s47
	v_sub_co_u32_e32 v10, vcc, v31, v10
	v_subb_co_u32_e64 v19, s[0:1], v19, v26, vcc
	v_subrev_co_u32_e64 v27, s[0:1], s46, v10
	v_subbrev_co_u32_e64 v28, s[2:3], 0, v19, s[0:1]
	v_cmp_le_u32_e64 s[2:3], s47, v28
	v_cndmask_b32_e64 v31, 0, -1, s[2:3]
	v_cmp_le_u32_e64 s[2:3], s46, v27
	v_subb_co_u32_e64 v19, s[0:1], v19, v26, s[0:1]
	v_cndmask_b32_e64 v32, 0, -1, s[2:3]
	v_cmp_eq_u32_e64 s[2:3], s47, v28
	v_subrev_co_u32_e64 v26, s[0:1], s46, v27
	v_cndmask_b32_e64 v31, v31, v32, s[2:3]
	v_subbrev_co_u32_e64 v19, s[0:1], 0, v19, s[0:1]
	v_subb_co_u32_e32 v11, vcc, v30, v11, vcc
	v_cmp_ne_u32_e64 s[0:1], 0, v31
	v_cmp_le_u32_e32 vcc, s47, v11
	v_cndmask_b32_e64 v19, v28, v19, s[0:1]
	v_cndmask_b32_e64 v28, 0, -1, vcc
	v_cmp_le_u32_e32 vcc, s46, v10
	v_cndmask_b32_e64 v30, 0, -1, vcc
	v_cmp_eq_u32_e32 vcc, s47, v11
	v_cndmask_b32_e32 v28, v28, v30, vcc
	v_cmp_ne_u32_e32 vcc, 0, v28
	v_cndmask_b32_e32 v11, v11, v19, vcc
	v_cndmask_b32_e64 v19, v27, v26, s[0:1]
	v_cndmask_b32_e32 v10, v10, v19, vcc
	v_xor_b32_e32 v10, v10, v29
	v_xor_b32_e32 v11, v11, v29
	v_sub_co_u32_e32 v10, vcc, v10, v29
	v_subb_co_u32_e32 v11, vcc, v11, v29, vcc
                                        ; implicit-def: $vgpr26_vgpr27
.LBB36_26:                              ;   in Loop: Header=BB36_9 Depth=1
	s_andn2_saveexec_b64 s[0:1], s[4:5]
	s_cbranch_execz .LBB36_7
; %bb.27:                               ;   in Loop: Header=BB36_9 Depth=1
	v_cvt_f32_u32_e32 v10, s22
	s_sub_i32 s2, 0, s22
	v_rcp_iflag_f32_e32 v10, v10
	v_mul_f32_e32 v10, 0x4f7ffffe, v10
	v_cvt_u32_f32_e32 v10, v10
	v_mul_lo_u32 v11, s2, v10
	v_mul_hi_u32 v11, v10, v11
	v_add_u32_e32 v10, v10, v11
	v_mul_hi_u32 v10, v26, v10
	v_mul_lo_u32 v10, v10, s22
	v_sub_u32_e32 v10, v26, v10
	v_subrev_u32_e32 v11, s22, v10
	v_cmp_le_u32_e32 vcc, s22, v10
	v_cndmask_b32_e32 v10, v10, v11, vcc
	v_subrev_u32_e32 v11, s22, v10
	v_cmp_le_u32_e32 vcc, s22, v10
	v_cndmask_b32_e32 v10, v10, v11, vcc
	v_mov_b32_e32 v11, v18
	s_branch .LBB36_7
.LBB36_28:
	s_or_b64 exec, exec, s[40:41]
	v_mad_u64_u32 v[2:3], s[0:1], v14, s20, v[2:3]
	v_mul_lo_u32 v0, v14, s21
	v_mul_lo_u32 v1, v15, s20
	v_cmp_ne_u64_e32 vcc, v[12:13], v[14:15]
	v_add3_u32 v3, v1, v3, v0
	s_and_b64 s[0:1], vcc, exec
.LBB36_29:
	s_or_saveexec_b64 s[2:3], s[26:27]
	v_pk_mov_b32 v[0:1], s[30:31], s[30:31] op_sel:[0,1]
	v_pk_mov_b32 v[4:5], s[34:35], s[34:35] op_sel:[0,1]
	s_xor_b64 exec, exec, s[2:3]
; %bb.30:
	s_sub_u32 s4, 0, s8
	s_subb_u32 s5, 0, s9
	s_lshl_b64 s[6:7], s[20:21], 2
	v_pk_mov_b32 v[0:1], s[4:5], s[4:5] op_sel:[0,1]
	v_pk_mov_b32 v[4:5], s[6:7], s[6:7] op_sel:[0,1]
	s_or_b64 s[0:1], s[0:1], exec
; %bb.31:
	s_or_b64 exec, exec, s[2:3]
	s_and_b64 exec, exec, s[0:1]
	s_cbranch_execz .LBB36_44
; %bb.32:
	v_lshlrev_b64 v[6:7], 2, v[2:3]
	s_sub_u32 s26, 0, s18
	v_mov_b32_e32 v8, s15
	v_add_co_u32_e32 v6, vcc, s14, v6
	s_mov_b64 s[4:5], 0
	s_subb_u32 s27, 0, s19
	v_addc_co_u32_e32 v7, vcc, v8, v7, vcc
	v_mov_b32_e32 v8, 0
	s_ashr_i32 s6, s9, 31
	s_sub_i32 s28, 0, s8
	s_branch .LBB36_35
.LBB36_33:                              ;   in Loop: Header=BB36_35 Depth=1
	s_or_b64 exec, exec, s[0:1]
	v_ashrrev_i32_e32 v9, 31, v15
	v_and_b32_e32 v13, s23, v9
	v_and_b32_e32 v9, s22, v9
	v_add_co_u32_e32 v12, vcc, v9, v14
	v_addc_co_u32_e32 v13, vcc, v13, v15, vcc
	v_mov_b32_e32 v9, s23
	v_sub_co_u32_e32 v14, vcc, s22, v12
	v_subb_co_u32_e32 v9, vcc, v9, v13, vcc
	v_cmp_gt_i64_e32 vcc, s[16:17], v[12:13]
	v_cndmask_b32_e32 v13, v9, v13, vcc
	v_cndmask_b32_e32 v12, v14, v12, vcc
.LBB36_34:                              ;   in Loop: Header=BB36_35 Depth=1
	v_mul_lo_u32 v9, v11, s16
	v_mul_lo_u32 v14, v10, s17
	v_mad_u64_u32 v[10:11], s[0:1], v10, s16, 0
	v_add3_u32 v11, v11, v14, v9
	v_lshlrev_b64 v[10:11], 2, v[10:11]
	v_mov_b32_e32 v9, s13
	v_add_co_u32_e32 v14, vcc, s12, v10
	v_addc_co_u32_e32 v9, vcc, v9, v11, vcc
	v_lshlrev_b64 v[10:11], 2, v[12:13]
	v_add_co_u32_e32 v10, vcc, v14, v10
	v_addc_co_u32_e32 v11, vcc, v9, v11, vcc
	global_load_dword v9, v[10:11], off
	v_mov_b32_e32 v10, s21
	v_add_co_u32_e32 v2, vcc, s20, v2
	v_addc_co_u32_e32 v3, vcc, v3, v10, vcc
	v_cmp_le_i64_e32 vcc, s[10:11], v[2:3]
	s_or_b64 s[4:5], vcc, s[4:5]
	s_waitcnt vmcnt(0)
	global_store_dword v[6:7], v9, off
	v_add_co_u32_e32 v6, vcc, v6, v4
	v_addc_co_u32_e32 v7, vcc, v7, v5, vcc
	s_andn2_b64 exec, exec, s[4:5]
	s_cbranch_execz .LBB36_44
.LBB36_35:                              ; =>This Inner Loop Header: Depth=1
	v_or_b32_e32 v9, s9, v3
	v_cmp_ne_u64_e32 vcc, 0, v[8:9]
                                        ; implicit-def: $vgpr10_vgpr11
	s_and_saveexec_b64 s[0:1], vcc
	s_xor_b64 s[2:3], exec, s[0:1]
	s_cbranch_execnz .LBB36_38
; %bb.36:                               ;   in Loop: Header=BB36_35 Depth=1
	s_andn2_saveexec_b64 s[0:1], s[2:3]
	s_cbranch_execnz .LBB36_39
.LBB36_37:                              ;   in Loop: Header=BB36_35 Depth=1
	s_or_b64 exec, exec, s[0:1]
	s_andn2_b64 vcc, exec, s[24:25]
	v_pk_mov_b32 v[12:13], 0, 0
	s_cbranch_vccnz .LBB36_34
	s_branch .LBB36_40
.LBB36_38:                              ;   in Loop: Header=BB36_35 Depth=1
	s_add_u32 s0, s8, s6
	s_mov_b32 s7, s6
	s_addc_u32 s1, s9, s6
	s_xor_b64 s[14:15], s[0:1], s[6:7]
	v_cvt_f32_u32_e32 v9, s14
	v_cvt_f32_u32_e32 v10, s15
	s_sub_u32 s0, 0, s14
	s_subb_u32 s1, 0, s15
	v_mac_f32_e32 v9, 0x4f800000, v10
	v_rcp_f32_e32 v9, v9
	v_mul_f32_e32 v9, 0x5f7ffffc, v9
	v_mul_f32_e32 v10, 0x2f800000, v9
	v_trunc_f32_e32 v10, v10
	v_mac_f32_e32 v9, 0xcf800000, v10
	v_cvt_u32_f32_e32 v10, v10
	v_cvt_u32_f32_e32 v9, v9
	v_mul_lo_u32 v11, s0, v10
	v_mul_hi_u32 v13, s0, v9
	v_mul_lo_u32 v12, s1, v9
	v_add_u32_e32 v11, v13, v11
	v_mul_lo_u32 v14, s0, v9
	v_add_u32_e32 v11, v11, v12
	v_mul_lo_u32 v13, v9, v11
	v_mul_hi_u32 v15, v9, v14
	v_mul_hi_u32 v12, v9, v11
	v_add_co_u32_e32 v13, vcc, v15, v13
	v_addc_co_u32_e32 v12, vcc, 0, v12, vcc
	v_mul_hi_u32 v16, v10, v14
	v_mul_lo_u32 v14, v10, v14
	v_add_co_u32_e32 v13, vcc, v13, v14
	v_mul_hi_u32 v15, v10, v11
	v_addc_co_u32_e32 v12, vcc, v12, v16, vcc
	v_addc_co_u32_e32 v13, vcc, 0, v15, vcc
	v_mul_lo_u32 v11, v10, v11
	v_add_co_u32_e32 v11, vcc, v12, v11
	v_addc_co_u32_e32 v12, vcc, 0, v13, vcc
	v_add_co_u32_e32 v9, vcc, v9, v11
	v_addc_co_u32_e32 v10, vcc, v10, v12, vcc
	v_mul_lo_u32 v11, s0, v10
	v_mul_hi_u32 v12, s0, v9
	v_add_u32_e32 v11, v12, v11
	v_mul_lo_u32 v12, s1, v9
	v_add_u32_e32 v11, v11, v12
	v_mul_lo_u32 v13, s0, v9
	v_mul_hi_u32 v14, v10, v13
	v_mul_lo_u32 v15, v10, v13
	v_mul_lo_u32 v17, v9, v11
	v_mul_hi_u32 v13, v9, v13
	v_mul_hi_u32 v16, v9, v11
	v_add_co_u32_e32 v13, vcc, v13, v17
	v_addc_co_u32_e32 v16, vcc, 0, v16, vcc
	v_add_co_u32_e32 v13, vcc, v13, v15
	v_mul_hi_u32 v12, v10, v11
	v_addc_co_u32_e32 v13, vcc, v16, v14, vcc
	v_addc_co_u32_e32 v12, vcc, 0, v12, vcc
	v_mul_lo_u32 v11, v10, v11
	v_add_co_u32_e32 v11, vcc, v13, v11
	v_addc_co_u32_e32 v12, vcc, 0, v12, vcc
	v_add_co_u32_e32 v9, vcc, v9, v11
	v_addc_co_u32_e32 v12, vcc, v10, v12, vcc
	v_ashrrev_i32_e32 v14, 31, v3
	v_add_co_u32_e32 v10, vcc, v2, v14
	v_addc_co_u32_e32 v11, vcc, v3, v14, vcc
	v_xor_b32_e32 v16, v10, v14
	v_xor_b32_e32 v15, v11, v14
	v_mad_u64_u32 v[10:11], s[0:1], v16, v12, 0
	v_mul_hi_u32 v13, v16, v9
	v_add_co_u32_e32 v17, vcc, v13, v10
	v_addc_co_u32_e32 v18, vcc, 0, v11, vcc
	v_mad_u64_u32 v[10:11], s[0:1], v15, v12, 0
	v_mad_u64_u32 v[12:13], s[0:1], v15, v9, 0
	v_add_co_u32_e32 v9, vcc, v17, v12
	v_addc_co_u32_e32 v9, vcc, v18, v13, vcc
	v_addc_co_u32_e32 v11, vcc, 0, v11, vcc
	v_add_co_u32_e32 v9, vcc, v9, v10
	v_addc_co_u32_e32 v12, vcc, 0, v11, vcc
	v_mul_lo_u32 v13, s15, v9
	v_mul_lo_u32 v17, s14, v12
	v_mad_u64_u32 v[10:11], s[0:1], s14, v9, 0
	v_add3_u32 v11, v11, v17, v13
	v_sub_u32_e32 v13, v15, v11
	v_mov_b32_e32 v17, s15
	v_sub_co_u32_e32 v10, vcc, v16, v10
	v_subb_co_u32_e64 v13, s[0:1], v13, v17, vcc
	v_subrev_co_u32_e64 v16, s[0:1], s14, v10
	v_subbrev_co_u32_e64 v13, s[0:1], 0, v13, s[0:1]
	v_cmp_le_u32_e64 s[0:1], s15, v13
	v_cndmask_b32_e64 v17, 0, -1, s[0:1]
	v_cmp_le_u32_e64 s[0:1], s14, v16
	v_cndmask_b32_e64 v16, 0, -1, s[0:1]
	v_cmp_eq_u32_e64 s[0:1], s15, v13
	v_cndmask_b32_e64 v13, v17, v16, s[0:1]
	v_add_co_u32_e64 v16, s[0:1], 2, v9
	v_subb_co_u32_e32 v11, vcc, v15, v11, vcc
	v_addc_co_u32_e64 v17, s[0:1], 0, v12, s[0:1]
	v_cmp_le_u32_e32 vcc, s15, v11
	v_add_co_u32_e64 v18, s[0:1], 1, v9
	v_cndmask_b32_e64 v15, 0, -1, vcc
	v_cmp_le_u32_e32 vcc, s14, v10
	v_addc_co_u32_e64 v19, s[0:1], 0, v12, s[0:1]
	v_cndmask_b32_e64 v10, 0, -1, vcc
	v_cmp_eq_u32_e32 vcc, s15, v11
	v_cmp_ne_u32_e64 s[0:1], 0, v13
	v_cndmask_b32_e32 v10, v15, v10, vcc
	v_cmp_ne_u32_e32 vcc, 0, v10
	v_cndmask_b32_e64 v11, v18, v16, s[0:1]
	v_cndmask_b32_e64 v13, v19, v17, s[0:1]
	v_cndmask_b32_e32 v9, v9, v11, vcc
	v_xor_b32_e32 v11, s6, v14
	v_cndmask_b32_e32 v10, v12, v13, vcc
	v_xor_b32_e32 v9, v9, v11
	v_xor_b32_e32 v12, v10, v11
	v_sub_co_u32_e32 v10, vcc, v9, v11
	v_subb_co_u32_e32 v11, vcc, v12, v11, vcc
	s_andn2_saveexec_b64 s[0:1], s[2:3]
	s_cbranch_execz .LBB36_37
.LBB36_39:                              ;   in Loop: Header=BB36_35 Depth=1
	v_cvt_f32_u32_e32 v9, s8
	v_rcp_iflag_f32_e32 v9, v9
	v_mul_f32_e32 v9, 0x4f7ffffe, v9
	v_cvt_u32_f32_e32 v9, v9
	v_mul_lo_u32 v10, s28, v9
	v_mul_hi_u32 v10, v9, v10
	v_add_u32_e32 v9, v9, v10
	v_mul_hi_u32 v9, v2, v9
	v_mul_lo_u32 v10, v9, s8
	v_sub_u32_e32 v10, v2, v10
	v_add_u32_e32 v11, 1, v9
	v_subrev_u32_e32 v12, s8, v10
	v_cmp_le_u32_e32 vcc, s8, v10
	v_cndmask_b32_e32 v10, v10, v12, vcc
	v_cndmask_b32_e32 v9, v9, v11, vcc
	v_add_u32_e32 v11, 1, v9
	v_cmp_le_u32_e32 vcc, s8, v10
	v_cndmask_b32_e32 v10, v9, v11, vcc
	v_mov_b32_e32 v11, v8
	s_or_b64 exec, exec, s[0:1]
	s_andn2_b64 vcc, exec, s[24:25]
	v_pk_mov_b32 v[12:13], 0, 0
	s_cbranch_vccnz .LBB36_34
.LBB36_40:                              ;   in Loop: Header=BB36_35 Depth=1
	v_mov_b32_e32 v9, s27
	v_add_co_u32_e32 v12, vcc, s26, v2
	v_addc_co_u32_e32 v13, vcc, v9, v3, vcc
	v_mul_lo_u32 v9, v0, v11
	v_mul_lo_u32 v14, v1, v10
	v_mad_u64_u32 v[12:13], s[0:1], v0, v10, v[12:13]
	v_add3_u32 v13, v14, v13, v9
	v_or_b32_e32 v9, s23, v13
	v_cmp_ne_u64_e32 vcc, 0, v[8:9]
                                        ; implicit-def: $vgpr14_vgpr15
	s_and_saveexec_b64 s[0:1], vcc
	s_xor_b64 s[14:15], exec, s[0:1]
	s_cbranch_execz .LBB36_42
; %bb.41:                               ;   in Loop: Header=BB36_35 Depth=1
	s_ashr_i32 s0, s23, 31
	s_add_u32 s2, s22, s0
	s_mov_b32 s1, s0
	s_addc_u32 s3, s23, s0
	s_xor_b64 s[18:19], s[2:3], s[0:1]
	v_cvt_f32_u32_e32 v9, s18
	v_cvt_f32_u32_e32 v14, s19
	s_sub_u32 s0, 0, s18
	s_subb_u32 s1, 0, s19
	v_mac_f32_e32 v9, 0x4f800000, v14
	v_rcp_f32_e32 v9, v9
	v_mul_f32_e32 v9, 0x5f7ffffc, v9
	v_mul_f32_e32 v14, 0x2f800000, v9
	v_trunc_f32_e32 v14, v14
	v_mac_f32_e32 v9, 0xcf800000, v14
	v_cvt_u32_f32_e32 v14, v14
	v_cvt_u32_f32_e32 v9, v9
	v_mul_lo_u32 v15, s0, v14
	v_mul_hi_u32 v17, s0, v9
	v_mul_lo_u32 v16, s1, v9
	v_add_u32_e32 v15, v17, v15
	v_mul_lo_u32 v18, s0, v9
	v_add_u32_e32 v15, v15, v16
	v_mul_lo_u32 v17, v9, v15
	v_mul_hi_u32 v19, v9, v18
	v_mul_hi_u32 v16, v9, v15
	v_add_co_u32_e32 v17, vcc, v19, v17
	v_addc_co_u32_e32 v16, vcc, 0, v16, vcc
	v_mul_hi_u32 v20, v14, v18
	v_mul_lo_u32 v18, v14, v18
	v_add_co_u32_e32 v17, vcc, v17, v18
	v_mul_hi_u32 v19, v14, v15
	v_addc_co_u32_e32 v16, vcc, v16, v20, vcc
	v_addc_co_u32_e32 v17, vcc, 0, v19, vcc
	v_mul_lo_u32 v15, v14, v15
	v_add_co_u32_e32 v15, vcc, v16, v15
	v_addc_co_u32_e32 v16, vcc, 0, v17, vcc
	v_add_co_u32_e32 v9, vcc, v9, v15
	v_addc_co_u32_e32 v14, vcc, v14, v16, vcc
	v_mul_lo_u32 v15, s0, v14
	v_mul_hi_u32 v16, s0, v9
	v_add_u32_e32 v15, v16, v15
	v_mul_lo_u32 v16, s1, v9
	v_add_u32_e32 v15, v15, v16
	v_mul_lo_u32 v17, s0, v9
	v_mul_hi_u32 v18, v14, v17
	v_mul_lo_u32 v19, v14, v17
	v_mul_lo_u32 v21, v9, v15
	v_mul_hi_u32 v17, v9, v17
	v_mul_hi_u32 v20, v9, v15
	v_add_co_u32_e32 v17, vcc, v17, v21
	v_addc_co_u32_e32 v20, vcc, 0, v20, vcc
	v_add_co_u32_e32 v17, vcc, v17, v19
	v_mul_hi_u32 v16, v14, v15
	v_addc_co_u32_e32 v17, vcc, v20, v18, vcc
	v_addc_co_u32_e32 v16, vcc, 0, v16, vcc
	v_mul_lo_u32 v15, v14, v15
	v_add_co_u32_e32 v15, vcc, v17, v15
	v_addc_co_u32_e32 v16, vcc, 0, v16, vcc
	v_add_co_u32_e32 v9, vcc, v9, v15
	v_addc_co_u32_e32 v14, vcc, v14, v16, vcc
	v_ashrrev_i32_e32 v16, 31, v13
	v_add_co_u32_e32 v12, vcc, v12, v16
	v_addc_co_u32_e32 v13, vcc, v13, v16, vcc
	v_xor_b32_e32 v18, v12, v16
	v_xor_b32_e32 v17, v13, v16
	v_mad_u64_u32 v[12:13], s[0:1], v18, v14, 0
	v_mul_hi_u32 v15, v18, v9
	v_add_co_u32_e32 v19, vcc, v15, v12
	v_addc_co_u32_e32 v20, vcc, 0, v13, vcc
	v_mad_u64_u32 v[12:13], s[0:1], v17, v14, 0
	v_mad_u64_u32 v[14:15], s[0:1], v17, v9, 0
	v_add_co_u32_e32 v9, vcc, v19, v14
	v_addc_co_u32_e32 v9, vcc, v20, v15, vcc
	v_addc_co_u32_e32 v13, vcc, 0, v13, vcc
	v_add_co_u32_e32 v9, vcc, v9, v12
	v_addc_co_u32_e32 v12, vcc, 0, v13, vcc
	v_mul_lo_u32 v14, s19, v9
	v_mul_lo_u32 v15, s18, v12
	v_mad_u64_u32 v[12:13], s[0:1], s18, v9, 0
	v_add3_u32 v9, v13, v15, v14
	v_sub_u32_e32 v13, v17, v9
	v_mov_b32_e32 v14, s19
	v_sub_co_u32_e32 v12, vcc, v18, v12
	v_subb_co_u32_e64 v13, s[0:1], v13, v14, vcc
	v_subrev_co_u32_e64 v15, s[0:1], s18, v12
	v_subbrev_co_u32_e64 v18, s[2:3], 0, v13, s[0:1]
	v_cmp_le_u32_e64 s[2:3], s19, v18
	v_cndmask_b32_e64 v19, 0, -1, s[2:3]
	v_cmp_le_u32_e64 s[2:3], s18, v15
	v_subb_co_u32_e64 v13, s[0:1], v13, v14, s[0:1]
	v_cndmask_b32_e64 v20, 0, -1, s[2:3]
	v_cmp_eq_u32_e64 s[2:3], s19, v18
	v_subrev_co_u32_e64 v14, s[0:1], s18, v15
	v_subb_co_u32_e32 v9, vcc, v17, v9, vcc
	v_cndmask_b32_e64 v19, v19, v20, s[2:3]
	v_subbrev_co_u32_e64 v13, s[0:1], 0, v13, s[0:1]
	v_cmp_le_u32_e32 vcc, s19, v9
	v_cmp_ne_u32_e64 s[0:1], 0, v19
	v_cndmask_b32_e64 v17, 0, -1, vcc
	v_cmp_le_u32_e32 vcc, s18, v12
	v_cndmask_b32_e64 v13, v18, v13, s[0:1]
	v_cndmask_b32_e64 v18, 0, -1, vcc
	v_cmp_eq_u32_e32 vcc, s19, v9
	v_cndmask_b32_e32 v17, v17, v18, vcc
	v_cmp_ne_u32_e32 vcc, 0, v17
	v_cndmask_b32_e32 v9, v9, v13, vcc
	v_cndmask_b32_e64 v13, v15, v14, s[0:1]
	v_cndmask_b32_e32 v12, v12, v13, vcc
	v_xor_b32_e32 v12, v12, v16
	v_xor_b32_e32 v9, v9, v16
	v_sub_co_u32_e32 v14, vcc, v12, v16
	v_subb_co_u32_e32 v15, vcc, v9, v16, vcc
                                        ; implicit-def: $vgpr12_vgpr13
.LBB36_42:                              ;   in Loop: Header=BB36_35 Depth=1
	s_andn2_saveexec_b64 s[0:1], s[14:15]
	s_cbranch_execz .LBB36_33
; %bb.43:                               ;   in Loop: Header=BB36_35 Depth=1
	v_cvt_f32_u32_e32 v9, s22
	s_sub_i32 s2, 0, s22
	v_mov_b32_e32 v15, v8
	v_rcp_iflag_f32_e32 v9, v9
	v_mul_f32_e32 v9, 0x4f7ffffe, v9
	v_cvt_u32_f32_e32 v9, v9
	v_mul_lo_u32 v13, s2, v9
	v_mul_hi_u32 v13, v9, v13
	v_add_u32_e32 v9, v9, v13
	v_mul_hi_u32 v9, v12, v9
	v_mul_lo_u32 v9, v9, s22
	v_sub_u32_e32 v9, v12, v9
	v_subrev_u32_e32 v12, s22, v9
	v_cmp_le_u32_e32 vcc, s22, v9
	v_cndmask_b32_e32 v9, v9, v12, vcc
	v_subrev_u32_e32 v12, s22, v9
	v_cmp_le_u32_e32 vcc, s22, v9
	v_cndmask_b32_e32 v14, v9, v12, vcc
	s_branch .LBB36_33
.LBB36_44:
	s_endpgm
	.section	.rodata,"a",@progbits
	.p2align	6, 0x0
	.amdhsa_kernel _ZN2at6native12_GLOBAL__N_121reflection_pad1d_flatIfEEvPKT_PS3_lllll
		.amdhsa_group_segment_fixed_size 0
		.amdhsa_private_segment_fixed_size 0
		.amdhsa_kernarg_size 312
		.amdhsa_user_sgpr_count 6
		.amdhsa_user_sgpr_private_segment_buffer 1
		.amdhsa_user_sgpr_dispatch_ptr 0
		.amdhsa_user_sgpr_queue_ptr 0
		.amdhsa_user_sgpr_kernarg_segment_ptr 1
		.amdhsa_user_sgpr_dispatch_id 0
		.amdhsa_user_sgpr_flat_scratch_init 0
		.amdhsa_user_sgpr_kernarg_preload_length 0
		.amdhsa_user_sgpr_kernarg_preload_offset 0
		.amdhsa_user_sgpr_private_segment_size 0
		.amdhsa_uses_dynamic_stack 0
		.amdhsa_system_sgpr_private_segment_wavefront_offset 0
		.amdhsa_system_sgpr_workgroup_id_x 1
		.amdhsa_system_sgpr_workgroup_id_y 0
		.amdhsa_system_sgpr_workgroup_id_z 0
		.amdhsa_system_sgpr_workgroup_info 0
		.amdhsa_system_vgpr_workitem_id 0
		.amdhsa_next_free_vgpr 34
		.amdhsa_next_free_sgpr 57
		.amdhsa_accum_offset 36
		.amdhsa_reserve_vcc 1
		.amdhsa_reserve_flat_scratch 0
		.amdhsa_float_round_mode_32 0
		.amdhsa_float_round_mode_16_64 0
		.amdhsa_float_denorm_mode_32 3
		.amdhsa_float_denorm_mode_16_64 3
		.amdhsa_dx10_clamp 1
		.amdhsa_ieee_mode 1
		.amdhsa_fp16_overflow 0
		.amdhsa_tg_split 0
		.amdhsa_exception_fp_ieee_invalid_op 0
		.amdhsa_exception_fp_denorm_src 0
		.amdhsa_exception_fp_ieee_div_zero 0
		.amdhsa_exception_fp_ieee_overflow 0
		.amdhsa_exception_fp_ieee_underflow 0
		.amdhsa_exception_fp_ieee_inexact 0
		.amdhsa_exception_int_div_zero 0
	.end_amdhsa_kernel
	.section	.text._ZN2at6native12_GLOBAL__N_121reflection_pad1d_flatIfEEvPKT_PS3_lllll,"axG",@progbits,_ZN2at6native12_GLOBAL__N_121reflection_pad1d_flatIfEEvPKT_PS3_lllll,comdat
.Lfunc_end36:
	.size	_ZN2at6native12_GLOBAL__N_121reflection_pad1d_flatIfEEvPKT_PS3_lllll, .Lfunc_end36-_ZN2at6native12_GLOBAL__N_121reflection_pad1d_flatIfEEvPKT_PS3_lllll
                                        ; -- End function
	.section	.AMDGPU.csdata,"",@progbits
; Kernel info:
; codeLenInByte = 6840
; NumSgprs: 61
; NumVgprs: 34
; NumAgprs: 0
; TotalNumVgprs: 34
; ScratchSize: 0
; MemoryBound: 0
; FloatMode: 240
; IeeeMode: 1
; LDSByteSize: 0 bytes/workgroup (compile time only)
; SGPRBlocks: 7
; VGPRBlocks: 4
; NumSGPRsForWavesPerEU: 61
; NumVGPRsForWavesPerEU: 34
; AccumOffset: 36
; Occupancy: 8
; WaveLimiterHint : 0
; COMPUTE_PGM_RSRC2:SCRATCH_EN: 0
; COMPUTE_PGM_RSRC2:USER_SGPR: 6
; COMPUTE_PGM_RSRC2:TRAP_HANDLER: 0
; COMPUTE_PGM_RSRC2:TGID_X_EN: 1
; COMPUTE_PGM_RSRC2:TGID_Y_EN: 0
; COMPUTE_PGM_RSRC2:TGID_Z_EN: 0
; COMPUTE_PGM_RSRC2:TIDIG_COMP_CNT: 0
; COMPUTE_PGM_RSRC3_GFX90A:ACCUM_OFFSET: 8
; COMPUTE_PGM_RSRC3_GFX90A:TG_SPLIT: 0
	.section	.text._ZN2at6native12_GLOBAL__N_127reflection_pad1d_out_kernelIN3c107complexIdEEEEvPKT_PS6_lll,"axG",@progbits,_ZN2at6native12_GLOBAL__N_127reflection_pad1d_out_kernelIN3c107complexIdEEEEvPKT_PS6_lll,comdat
	.globl	_ZN2at6native12_GLOBAL__N_127reflection_pad1d_out_kernelIN3c107complexIdEEEEvPKT_PS6_lll ; -- Begin function _ZN2at6native12_GLOBAL__N_127reflection_pad1d_out_kernelIN3c107complexIdEEEEvPKT_PS6_lll
	.p2align	8
	.type	_ZN2at6native12_GLOBAL__N_127reflection_pad1d_out_kernelIN3c107complexIdEEEEvPKT_PS6_lll,@function
_ZN2at6native12_GLOBAL__N_127reflection_pad1d_out_kernelIN3c107complexIdEEEEvPKT_PS6_lll: ; @_ZN2at6native12_GLOBAL__N_127reflection_pad1d_out_kernelIN3c107complexIdEEEEvPKT_PS6_lll
; %bb.0:
	s_load_dword s9, s[4:5], 0x34
	s_load_dwordx2 s[0:1], s[4:5], 0x20
	s_load_dwordx8 s[12:19], s[4:5], 0x0
	s_add_u32 s2, s4, 40
	s_addc_u32 s3, s5, 0
	s_waitcnt lgkmcnt(0)
	s_and_b32 s4, s9, 0xffff
	v_mov_b32_e32 v1, 0
	v_mov_b32_e32 v2, s6
	v_mad_u64_u32 v[0:1], s[4:5], s4, v2, v[0:1]
	s_add_u32 s4, s18, s16
	s_addc_u32 s5, s19, s17
	s_add_u32 s0, s4, s0
	s_addc_u32 s1, s5, s1
	v_cmp_gt_i64_e32 vcc, s[0:1], v[0:1]
	s_and_saveexec_b64 s[10:11], vcc
	s_cbranch_execz .LBB37_2
; %bb.1:
	s_load_dword s6, s[2:3], 0x4
	s_sub_u32 s2, 0, s18
	v_mov_b32_e32 v2, s19
	v_subrev_co_u32_e32 v3, vcc, s18, v0
	s_waitcnt lgkmcnt(0)
	s_mul_i32 s6, s6, s8
	s_subb_u32 s3, 0, s19
	s_add_i32 s10, s6, s7
	v_subb_co_u32_e32 v2, vcc, v1, v2, vcc
	s_mul_i32 s7, s10, s17
	s_mul_hi_u32 s8, s10, s16
	v_ashrrev_i32_e32 v4, 31, v2
	s_add_i32 s7, s8, s7
	s_mul_i32 s1, s1, s10
	s_mul_hi_u32 s8, s0, s10
	v_xor_b32_e32 v5, v2, v4
	v_xor_b32_e32 v2, v3, v4
	s_add_i32 s1, s8, s1
	v_cmp_gt_i64_e64 s[8:9], s[2:3], 0
	v_sub_co_u32_e32 v2, vcc, v2, v4
	s_and_b64 s[8:9], s[8:9], exec
	v_subb_co_u32_e32 v3, vcc, v5, v4, vcc
	s_cselect_b32 s8, s3, 0
	s_cselect_b32 s9, s2, 0
	v_cmp_gt_i64_e64 s[2:3], s[18:19], 0
	v_mov_b32_e32 v4, s5
	v_subrev_co_u32_e32 v5, vcc, s4, v0
	s_and_b64 s[2:3], s[2:3], exec
	v_subb_co_u32_e32 v4, vcc, v1, v4, vcc
	s_cselect_b32 s3, s19, 0
	s_cselect_b32 s2, s18, 0
	v_add_co_u32_e32 v5, vcc, 1, v5
	v_addc_co_u32_e32 v4, vcc, 0, v4, vcc
	s_not_b64 s[2:3], s[2:3]
	v_ashrrev_i32_e32 v6, 31, v4
	s_add_u32 s4, s4, s18
	v_xor_b32_e32 v5, v5, v6
	s_addc_u32 s5, s5, s19
	v_xor_b32_e32 v4, v4, v6
	v_sub_co_u32_e32 v5, vcc, v5, v6
	s_add_u32 s2, s4, s2
	v_subb_co_u32_e32 v4, vcc, v4, v6, vcc
	s_addc_u32 s3, s5, s3
	s_add_u32 s2, s2, s9
	v_add_co_u32_e32 v5, vcc, v0, v5
	s_addc_u32 s3, s3, s8
	v_addc_co_u32_e32 v6, vcc, v1, v4, vcc
	v_mov_b32_e32 v7, s3
	v_sub_co_u32_e32 v4, vcc, s2, v5
	v_subb_co_u32_e32 v5, vcc, v7, v6, vcc
	v_lshlrev_b64 v[4:5], 4, v[4:5]
	v_mov_b32_e32 v6, s13
	v_add_co_u32_e32 v4, vcc, s12, v4
	v_addc_co_u32_e32 v5, vcc, v6, v5, vcc
	v_lshlrev_b64 v[2:3], 4, v[2:3]
	s_mul_i32 s6, s10, s16
	v_add_co_u32_e32 v2, vcc, v4, v2
	v_addc_co_u32_e32 v3, vcc, v5, v3, vcc
	s_lshl_b64 s[2:3], s[6:7], 4
	v_mov_b32_e32 v4, s3
	v_add_co_u32_e32 v2, vcc, s2, v2
	v_addc_co_u32_e32 v3, vcc, v3, v4, vcc
	global_load_dwordx4 v[2:5], v[2:3], off
	s_mul_i32 s0, s0, s10
	s_lshl_b64 s[0:1], s[0:1], 4
	s_add_u32 s0, s14, s0
	s_addc_u32 s1, s15, s1
	v_lshlrev_b64 v[0:1], 4, v[0:1]
	v_mov_b32_e32 v6, s1
	v_add_co_u32_e32 v0, vcc, s0, v0
	v_addc_co_u32_e32 v1, vcc, v6, v1, vcc
	s_waitcnt vmcnt(0)
	global_store_dwordx4 v[0:1], v[2:5], off
.LBB37_2:
	s_endpgm
	.section	.rodata,"a",@progbits
	.p2align	6, 0x0
	.amdhsa_kernel _ZN2at6native12_GLOBAL__N_127reflection_pad1d_out_kernelIN3c107complexIdEEEEvPKT_PS6_lll
		.amdhsa_group_segment_fixed_size 0
		.amdhsa_private_segment_fixed_size 0
		.amdhsa_kernarg_size 296
		.amdhsa_user_sgpr_count 6
		.amdhsa_user_sgpr_private_segment_buffer 1
		.amdhsa_user_sgpr_dispatch_ptr 0
		.amdhsa_user_sgpr_queue_ptr 0
		.amdhsa_user_sgpr_kernarg_segment_ptr 1
		.amdhsa_user_sgpr_dispatch_id 0
		.amdhsa_user_sgpr_flat_scratch_init 0
		.amdhsa_user_sgpr_kernarg_preload_length 0
		.amdhsa_user_sgpr_kernarg_preload_offset 0
		.amdhsa_user_sgpr_private_segment_size 0
		.amdhsa_uses_dynamic_stack 0
		.amdhsa_system_sgpr_private_segment_wavefront_offset 0
		.amdhsa_system_sgpr_workgroup_id_x 1
		.amdhsa_system_sgpr_workgroup_id_y 1
		.amdhsa_system_sgpr_workgroup_id_z 1
		.amdhsa_system_sgpr_workgroup_info 0
		.amdhsa_system_vgpr_workitem_id 0
		.amdhsa_next_free_vgpr 8
		.amdhsa_next_free_sgpr 20
		.amdhsa_accum_offset 8
		.amdhsa_reserve_vcc 1
		.amdhsa_reserve_flat_scratch 0
		.amdhsa_float_round_mode_32 0
		.amdhsa_float_round_mode_16_64 0
		.amdhsa_float_denorm_mode_32 3
		.amdhsa_float_denorm_mode_16_64 3
		.amdhsa_dx10_clamp 1
		.amdhsa_ieee_mode 1
		.amdhsa_fp16_overflow 0
		.amdhsa_tg_split 0
		.amdhsa_exception_fp_ieee_invalid_op 0
		.amdhsa_exception_fp_denorm_src 0
		.amdhsa_exception_fp_ieee_div_zero 0
		.amdhsa_exception_fp_ieee_overflow 0
		.amdhsa_exception_fp_ieee_underflow 0
		.amdhsa_exception_fp_ieee_inexact 0
		.amdhsa_exception_int_div_zero 0
	.end_amdhsa_kernel
	.section	.text._ZN2at6native12_GLOBAL__N_127reflection_pad1d_out_kernelIN3c107complexIdEEEEvPKT_PS6_lll,"axG",@progbits,_ZN2at6native12_GLOBAL__N_127reflection_pad1d_out_kernelIN3c107complexIdEEEEvPKT_PS6_lll,comdat
.Lfunc_end37:
	.size	_ZN2at6native12_GLOBAL__N_127reflection_pad1d_out_kernelIN3c107complexIdEEEEvPKT_PS6_lll, .Lfunc_end37-_ZN2at6native12_GLOBAL__N_127reflection_pad1d_out_kernelIN3c107complexIdEEEEvPKT_PS6_lll
                                        ; -- End function
	.section	.AMDGPU.csdata,"",@progbits
; Kernel info:
; codeLenInByte = 416
; NumSgprs: 24
; NumVgprs: 8
; NumAgprs: 0
; TotalNumVgprs: 8
; ScratchSize: 0
; MemoryBound: 0
; FloatMode: 240
; IeeeMode: 1
; LDSByteSize: 0 bytes/workgroup (compile time only)
; SGPRBlocks: 2
; VGPRBlocks: 0
; NumSGPRsForWavesPerEU: 24
; NumVGPRsForWavesPerEU: 8
; AccumOffset: 8
; Occupancy: 8
; WaveLimiterHint : 0
; COMPUTE_PGM_RSRC2:SCRATCH_EN: 0
; COMPUTE_PGM_RSRC2:USER_SGPR: 6
; COMPUTE_PGM_RSRC2:TRAP_HANDLER: 0
; COMPUTE_PGM_RSRC2:TGID_X_EN: 1
; COMPUTE_PGM_RSRC2:TGID_Y_EN: 1
; COMPUTE_PGM_RSRC2:TGID_Z_EN: 1
; COMPUTE_PGM_RSRC2:TIDIG_COMP_CNT: 0
; COMPUTE_PGM_RSRC3_GFX90A:ACCUM_OFFSET: 1
; COMPUTE_PGM_RSRC3_GFX90A:TG_SPLIT: 0
	.section	.text._ZN2at6native12_GLOBAL__N_121reflection_pad1d_flatIN3c107complexIdEEEEvPKT_PS6_lllll,"axG",@progbits,_ZN2at6native12_GLOBAL__N_121reflection_pad1d_flatIN3c107complexIdEEEEvPKT_PS6_lllll,comdat
	.globl	_ZN2at6native12_GLOBAL__N_121reflection_pad1d_flatIN3c107complexIdEEEEvPKT_PS6_lllll ; -- Begin function _ZN2at6native12_GLOBAL__N_121reflection_pad1d_flatIN3c107complexIdEEEEvPKT_PS6_lllll
	.p2align	8
	.type	_ZN2at6native12_GLOBAL__N_121reflection_pad1d_flatIN3c107complexIdEEEEvPKT_PS6_lllll,@function
_ZN2at6native12_GLOBAL__N_121reflection_pad1d_flatIN3c107complexIdEEEEvPKT_PS6_lllll: ; @_ZN2at6native12_GLOBAL__N_121reflection_pad1d_flatIN3c107complexIdEEEEvPKT_PS6_lllll
; %bb.0:
	s_load_dword s2, s[4:5], 0x44
	s_load_dwordx4 s[16:19], s[4:5], 0x28
	s_add_u32 s0, s4, 56
	v_mov_b32_e32 v2, 0
	s_addc_u32 s1, s5, 0
	s_waitcnt lgkmcnt(0)
	s_and_b32 s2, s2, 0xffff
	s_mul_i32 s3, s18, s17
	s_mul_hi_u32 s7, s18, s16
	v_mov_b32_e32 v1, v2
	s_add_i32 s3, s7, s3
	s_mul_i32 s7, s19, s16
	v_mov_b32_e32 v3, s6
	s_add_i32 s19, s3, s7
	s_mul_i32 s18, s18, s16
	v_mad_u64_u32 v[0:1], s[6:7], s2, v3, v[0:1]
	v_cmp_gt_i64_e32 vcc, s[18:19], v[0:1]
	s_and_saveexec_b64 s[6:7], vcc
	s_cbranch_execz .LBB38_13
; %bb.1:
	v_cvt_f32_u32_e32 v3, s16
	s_load_dword s3, s[0:1], 0x0
	s_load_dwordx8 s[8:15], s[4:5], 0x0
	v_lshlrev_b64 v[4:5], 4, v[0:1]
	s_mov_b64 s[4:5], 0
	v_rcp_iflag_f32_e32 v3, v3
	s_waitcnt lgkmcnt(0)
	s_mul_hi_u32 s7, s2, s3
	s_lshl_b64 s[0:1], s[12:13], 1
	s_add_u32 s20, s0, -2
	s_addc_u32 s21, s1, -1
	v_mul_f32_e32 v3, 0x4f7ffffe, v3
	s_sub_u32 s28, 0, s16
	v_cvt_u32_f32_e32 v12, v3
	s_subb_u32 s29, 0, s17
	s_mul_i32 s6, s2, s3
	s_sub_u32 s30, 0, s14
	v_mov_b32_e32 v6, s11
	v_add_co_u32_e32 v4, vcc, s10, v4
	v_cmp_gt_i64_e64 s[22:23], s[20:21], 0
	s_subb_u32 s31, 0, s15
	v_addc_co_u32_e32 v5, vcc, v6, v5, vcc
	s_lshl_b64 s[10:11], s[6:7], 4
	s_ashr_i32 s14, s17, 31
	s_branch .LBB38_4
.LBB38_2:                               ;   in Loop: Header=BB38_4 Depth=1
	s_or_b64 exec, exec, s[0:1]
	v_ashrrev_i32_e32 v3, 31, v11
	v_and_b32_e32 v9, s21, v3
	v_and_b32_e32 v3, s20, v3
	v_add_co_u32_e32 v8, vcc, v3, v10
	v_addc_co_u32_e32 v9, vcc, v9, v11, vcc
	v_mov_b32_e32 v3, s21
	v_sub_co_u32_e32 v10, vcc, s20, v8
	v_subb_co_u32_e32 v3, vcc, v3, v9, vcc
	v_cmp_gt_i64_e32 vcc, s[12:13], v[8:9]
	v_cndmask_b32_e32 v9, v3, v9, vcc
	v_cndmask_b32_e32 v8, v10, v8, vcc
.LBB38_3:                               ;   in Loop: Header=BB38_4 Depth=1
	v_mul_lo_u32 v3, v7, s12
	v_mul_lo_u32 v10, v6, s13
	v_mad_u64_u32 v[6:7], s[0:1], v6, s12, 0
	v_add3_u32 v7, v7, v10, v3
	v_lshlrev_b64 v[6:7], 4, v[6:7]
	v_mov_b32_e32 v3, s9
	v_add_co_u32_e32 v10, vcc, s8, v6
	v_addc_co_u32_e32 v3, vcc, v3, v7, vcc
	v_lshlrev_b64 v[6:7], 4, v[8:9]
	v_add_co_u32_e32 v6, vcc, v10, v6
	v_addc_co_u32_e32 v7, vcc, v3, v7, vcc
	global_load_dwordx4 v[6:9], v[6:7], off
	v_mov_b32_e32 v3, s7
	v_add_co_u32_e32 v0, vcc, s6, v0
	v_addc_co_u32_e32 v1, vcc, v1, v3, vcc
	v_cmp_le_i64_e32 vcc, s[18:19], v[0:1]
	v_mov_b32_e32 v10, s11
	s_or_b64 s[4:5], vcc, s[4:5]
	s_waitcnt vmcnt(0)
	global_store_dwordx4 v[4:5], v[6:9], off
	v_add_co_u32_e32 v4, vcc, s10, v4
	v_addc_co_u32_e32 v5, vcc, v5, v10, vcc
	s_andn2_b64 exec, exec, s[4:5]
	s_cbranch_execz .LBB38_13
.LBB38_4:                               ; =>This Inner Loop Header: Depth=1
	v_or_b32_e32 v3, s17, v1
	v_cmp_ne_u64_e32 vcc, 0, v[2:3]
                                        ; implicit-def: $vgpr6_vgpr7
	s_and_saveexec_b64 s[0:1], vcc
	s_xor_b64 s[2:3], exec, s[0:1]
	s_cbranch_execnz .LBB38_7
; %bb.5:                                ;   in Loop: Header=BB38_4 Depth=1
	s_andn2_saveexec_b64 s[0:1], s[2:3]
	s_cbranch_execnz .LBB38_8
.LBB38_6:                               ;   in Loop: Header=BB38_4 Depth=1
	s_or_b64 exec, exec, s[0:1]
	s_andn2_b64 vcc, exec, s[22:23]
	v_pk_mov_b32 v[8:9], 0, 0
	s_cbranch_vccnz .LBB38_3
	s_branch .LBB38_9
.LBB38_7:                               ;   in Loop: Header=BB38_4 Depth=1
	s_add_u32 s0, s16, s14
	s_mov_b32 s15, s14
	s_addc_u32 s1, s17, s14
	s_xor_b64 s[24:25], s[0:1], s[14:15]
	v_cvt_f32_u32_e32 v3, s24
	v_cvt_f32_u32_e32 v6, s25
	s_sub_u32 s0, 0, s24
	s_subb_u32 s1, 0, s25
	v_mac_f32_e32 v3, 0x4f800000, v6
	v_rcp_f32_e32 v3, v3
	v_mul_f32_e32 v3, 0x5f7ffffc, v3
	v_mul_f32_e32 v6, 0x2f800000, v3
	v_trunc_f32_e32 v6, v6
	v_mac_f32_e32 v3, 0xcf800000, v6
	v_cvt_u32_f32_e32 v6, v6
	v_cvt_u32_f32_e32 v3, v3
	v_mul_lo_u32 v7, s0, v6
	v_mul_hi_u32 v9, s0, v3
	v_mul_lo_u32 v8, s1, v3
	v_add_u32_e32 v7, v9, v7
	v_mul_lo_u32 v10, s0, v3
	v_add_u32_e32 v7, v7, v8
	v_mul_lo_u32 v9, v3, v7
	v_mul_hi_u32 v11, v3, v10
	v_mul_hi_u32 v8, v3, v7
	v_add_co_u32_e32 v9, vcc, v11, v9
	v_addc_co_u32_e32 v8, vcc, 0, v8, vcc
	v_mul_hi_u32 v13, v6, v10
	v_mul_lo_u32 v10, v6, v10
	v_add_co_u32_e32 v9, vcc, v9, v10
	v_mul_hi_u32 v11, v6, v7
	v_addc_co_u32_e32 v8, vcc, v8, v13, vcc
	v_addc_co_u32_e32 v9, vcc, 0, v11, vcc
	v_mul_lo_u32 v7, v6, v7
	v_add_co_u32_e32 v7, vcc, v8, v7
	v_addc_co_u32_e32 v8, vcc, 0, v9, vcc
	v_add_co_u32_e32 v3, vcc, v3, v7
	v_addc_co_u32_e32 v6, vcc, v6, v8, vcc
	v_mul_lo_u32 v7, s0, v6
	v_mul_hi_u32 v8, s0, v3
	v_add_u32_e32 v7, v8, v7
	v_mul_lo_u32 v8, s1, v3
	v_add_u32_e32 v7, v7, v8
	v_mul_lo_u32 v9, s0, v3
	v_mul_hi_u32 v10, v6, v9
	v_mul_lo_u32 v11, v6, v9
	v_mul_lo_u32 v14, v3, v7
	v_mul_hi_u32 v9, v3, v9
	v_mul_hi_u32 v13, v3, v7
	v_add_co_u32_e32 v9, vcc, v9, v14
	v_addc_co_u32_e32 v13, vcc, 0, v13, vcc
	v_add_co_u32_e32 v9, vcc, v9, v11
	v_mul_hi_u32 v8, v6, v7
	v_addc_co_u32_e32 v9, vcc, v13, v10, vcc
	v_addc_co_u32_e32 v8, vcc, 0, v8, vcc
	v_mul_lo_u32 v7, v6, v7
	v_add_co_u32_e32 v7, vcc, v9, v7
	v_addc_co_u32_e32 v8, vcc, 0, v8, vcc
	v_add_co_u32_e32 v3, vcc, v3, v7
	v_addc_co_u32_e32 v8, vcc, v6, v8, vcc
	v_ashrrev_i32_e32 v10, 31, v1
	v_add_co_u32_e32 v6, vcc, v0, v10
	v_addc_co_u32_e32 v7, vcc, v1, v10, vcc
	v_xor_b32_e32 v13, v6, v10
	v_xor_b32_e32 v11, v7, v10
	v_mad_u64_u32 v[6:7], s[0:1], v13, v8, 0
	v_mul_hi_u32 v9, v13, v3
	v_add_co_u32_e32 v14, vcc, v9, v6
	v_addc_co_u32_e32 v15, vcc, 0, v7, vcc
	v_mad_u64_u32 v[6:7], s[0:1], v11, v8, 0
	v_mad_u64_u32 v[8:9], s[0:1], v11, v3, 0
	v_add_co_u32_e32 v3, vcc, v14, v8
	v_addc_co_u32_e32 v3, vcc, v15, v9, vcc
	v_addc_co_u32_e32 v7, vcc, 0, v7, vcc
	v_add_co_u32_e32 v3, vcc, v3, v6
	v_addc_co_u32_e32 v8, vcc, 0, v7, vcc
	v_mul_lo_u32 v9, s25, v3
	v_mul_lo_u32 v14, s24, v8
	v_mad_u64_u32 v[6:7], s[0:1], s24, v3, 0
	v_add3_u32 v7, v7, v14, v9
	v_sub_u32_e32 v9, v11, v7
	v_mov_b32_e32 v14, s25
	v_sub_co_u32_e32 v6, vcc, v13, v6
	v_subb_co_u32_e64 v9, s[0:1], v9, v14, vcc
	v_subrev_co_u32_e64 v13, s[0:1], s24, v6
	v_subbrev_co_u32_e64 v9, s[0:1], 0, v9, s[0:1]
	v_cmp_le_u32_e64 s[0:1], s25, v9
	v_cndmask_b32_e64 v14, 0, -1, s[0:1]
	v_cmp_le_u32_e64 s[0:1], s24, v13
	v_cndmask_b32_e64 v13, 0, -1, s[0:1]
	v_cmp_eq_u32_e64 s[0:1], s25, v9
	v_cndmask_b32_e64 v9, v14, v13, s[0:1]
	v_add_co_u32_e64 v13, s[0:1], 2, v3
	v_subb_co_u32_e32 v7, vcc, v11, v7, vcc
	v_addc_co_u32_e64 v14, s[0:1], 0, v8, s[0:1]
	v_cmp_le_u32_e32 vcc, s25, v7
	v_add_co_u32_e64 v15, s[0:1], 1, v3
	v_cndmask_b32_e64 v11, 0, -1, vcc
	v_cmp_le_u32_e32 vcc, s24, v6
	v_addc_co_u32_e64 v16, s[0:1], 0, v8, s[0:1]
	v_cndmask_b32_e64 v6, 0, -1, vcc
	v_cmp_eq_u32_e32 vcc, s25, v7
	v_cmp_ne_u32_e64 s[0:1], 0, v9
	v_cndmask_b32_e32 v6, v11, v6, vcc
	v_cmp_ne_u32_e32 vcc, 0, v6
	v_cndmask_b32_e64 v7, v15, v13, s[0:1]
	v_cndmask_b32_e64 v9, v16, v14, s[0:1]
	v_cndmask_b32_e32 v3, v3, v7, vcc
	v_xor_b32_e32 v7, s14, v10
	v_cndmask_b32_e32 v6, v8, v9, vcc
	v_xor_b32_e32 v3, v3, v7
	v_xor_b32_e32 v8, v6, v7
	v_sub_co_u32_e32 v6, vcc, v3, v7
	v_subb_co_u32_e32 v7, vcc, v8, v7, vcc
	s_andn2_saveexec_b64 s[0:1], s[2:3]
	s_cbranch_execz .LBB38_6
.LBB38_8:                               ;   in Loop: Header=BB38_4 Depth=1
	s_sub_i32 s2, 0, s16
	v_mul_lo_u32 v3, s2, v12
	v_mul_hi_u32 v3, v12, v3
	v_add_u32_e32 v3, v12, v3
	v_mul_hi_u32 v3, v0, v3
	v_mul_lo_u32 v6, v3, s16
	v_sub_u32_e32 v6, v0, v6
	v_subrev_u32_e32 v7, s16, v6
	v_cmp_le_u32_e32 vcc, s16, v6
	v_cndmask_b32_e32 v6, v6, v7, vcc
	v_add_u32_e32 v7, 1, v3
	v_cndmask_b32_e32 v3, v3, v7, vcc
	v_add_u32_e32 v7, 1, v3
	v_cmp_le_u32_e32 vcc, s16, v6
	v_cndmask_b32_e32 v6, v3, v7, vcc
	v_mov_b32_e32 v7, v2
	s_or_b64 exec, exec, s[0:1]
	s_andn2_b64 vcc, exec, s[22:23]
	v_pk_mov_b32 v[8:9], 0, 0
	s_cbranch_vccnz .LBB38_3
.LBB38_9:                               ;   in Loop: Header=BB38_4 Depth=1
	v_mov_b32_e32 v3, s31
	v_add_co_u32_e32 v8, vcc, s30, v0
	v_addc_co_u32_e32 v9, vcc, v3, v1, vcc
	v_mul_lo_u32 v3, s28, v7
	v_mul_lo_u32 v10, s29, v6
	v_mad_u64_u32 v[8:9], s[0:1], s28, v6, v[8:9]
	v_add3_u32 v9, v10, v9, v3
	v_or_b32_e32 v3, s21, v9
	v_cmp_ne_u64_e32 vcc, 0, v[2:3]
                                        ; implicit-def: $vgpr10_vgpr11
	s_and_saveexec_b64 s[0:1], vcc
	s_xor_b64 s[24:25], exec, s[0:1]
	s_cbranch_execz .LBB38_11
; %bb.10:                               ;   in Loop: Header=BB38_4 Depth=1
	s_ashr_i32 s0, s21, 31
	s_add_u32 s2, s20, s0
	s_mov_b32 s1, s0
	s_addc_u32 s3, s21, s0
	s_xor_b64 s[26:27], s[2:3], s[0:1]
	v_cvt_f32_u32_e32 v3, s26
	v_cvt_f32_u32_e32 v10, s27
	s_sub_u32 s0, 0, s26
	s_subb_u32 s1, 0, s27
	v_mac_f32_e32 v3, 0x4f800000, v10
	v_rcp_f32_e32 v3, v3
	v_mul_f32_e32 v3, 0x5f7ffffc, v3
	v_mul_f32_e32 v10, 0x2f800000, v3
	v_trunc_f32_e32 v10, v10
	v_mac_f32_e32 v3, 0xcf800000, v10
	v_cvt_u32_f32_e32 v10, v10
	v_cvt_u32_f32_e32 v3, v3
	v_mul_lo_u32 v11, s0, v10
	v_mul_hi_u32 v14, s0, v3
	v_mul_lo_u32 v13, s1, v3
	v_add_u32_e32 v11, v14, v11
	v_mul_lo_u32 v15, s0, v3
	v_add_u32_e32 v11, v11, v13
	v_mul_lo_u32 v14, v3, v11
	v_mul_hi_u32 v16, v3, v15
	v_mul_hi_u32 v13, v3, v11
	v_add_co_u32_e32 v14, vcc, v16, v14
	v_addc_co_u32_e32 v13, vcc, 0, v13, vcc
	v_mul_hi_u32 v17, v10, v15
	v_mul_lo_u32 v15, v10, v15
	v_add_co_u32_e32 v14, vcc, v14, v15
	v_mul_hi_u32 v16, v10, v11
	v_addc_co_u32_e32 v13, vcc, v13, v17, vcc
	v_addc_co_u32_e32 v14, vcc, 0, v16, vcc
	v_mul_lo_u32 v11, v10, v11
	v_add_co_u32_e32 v11, vcc, v13, v11
	v_addc_co_u32_e32 v13, vcc, 0, v14, vcc
	v_add_co_u32_e32 v3, vcc, v3, v11
	v_addc_co_u32_e32 v10, vcc, v10, v13, vcc
	v_mul_lo_u32 v11, s0, v10
	v_mul_hi_u32 v13, s0, v3
	v_add_u32_e32 v11, v13, v11
	v_mul_lo_u32 v13, s1, v3
	v_add_u32_e32 v11, v11, v13
	v_mul_lo_u32 v14, s0, v3
	v_mul_hi_u32 v15, v10, v14
	v_mul_lo_u32 v16, v10, v14
	v_mul_lo_u32 v18, v3, v11
	v_mul_hi_u32 v14, v3, v14
	v_mul_hi_u32 v17, v3, v11
	v_add_co_u32_e32 v14, vcc, v14, v18
	v_addc_co_u32_e32 v17, vcc, 0, v17, vcc
	v_add_co_u32_e32 v14, vcc, v14, v16
	v_mul_hi_u32 v13, v10, v11
	v_addc_co_u32_e32 v14, vcc, v17, v15, vcc
	v_addc_co_u32_e32 v13, vcc, 0, v13, vcc
	v_mul_lo_u32 v11, v10, v11
	v_add_co_u32_e32 v11, vcc, v14, v11
	v_addc_co_u32_e32 v13, vcc, 0, v13, vcc
	v_add_co_u32_e32 v3, vcc, v3, v11
	v_addc_co_u32_e32 v10, vcc, v10, v13, vcc
	v_ashrrev_i32_e32 v13, 31, v9
	v_add_co_u32_e32 v8, vcc, v8, v13
	v_addc_co_u32_e32 v9, vcc, v9, v13, vcc
	v_xor_b32_e32 v15, v8, v13
	v_xor_b32_e32 v14, v9, v13
	v_mad_u64_u32 v[8:9], s[0:1], v15, v10, 0
	v_mul_hi_u32 v11, v15, v3
	v_add_co_u32_e32 v16, vcc, v11, v8
	v_addc_co_u32_e32 v17, vcc, 0, v9, vcc
	v_mad_u64_u32 v[8:9], s[0:1], v14, v10, 0
	v_mad_u64_u32 v[10:11], s[0:1], v14, v3, 0
	v_add_co_u32_e32 v3, vcc, v16, v10
	v_addc_co_u32_e32 v3, vcc, v17, v11, vcc
	v_addc_co_u32_e32 v9, vcc, 0, v9, vcc
	v_add_co_u32_e32 v3, vcc, v3, v8
	v_addc_co_u32_e32 v8, vcc, 0, v9, vcc
	v_mul_lo_u32 v10, s27, v3
	v_mul_lo_u32 v11, s26, v8
	v_mad_u64_u32 v[8:9], s[0:1], s26, v3, 0
	v_add3_u32 v3, v9, v11, v10
	v_sub_u32_e32 v9, v14, v3
	v_mov_b32_e32 v10, s27
	v_sub_co_u32_e32 v8, vcc, v15, v8
	v_subb_co_u32_e64 v9, s[0:1], v9, v10, vcc
	v_subrev_co_u32_e64 v11, s[0:1], s26, v8
	v_subbrev_co_u32_e64 v15, s[2:3], 0, v9, s[0:1]
	v_cmp_le_u32_e64 s[2:3], s27, v15
	v_cndmask_b32_e64 v16, 0, -1, s[2:3]
	v_cmp_le_u32_e64 s[2:3], s26, v11
	v_subb_co_u32_e64 v9, s[0:1], v9, v10, s[0:1]
	v_cndmask_b32_e64 v17, 0, -1, s[2:3]
	v_cmp_eq_u32_e64 s[2:3], s27, v15
	v_subrev_co_u32_e64 v10, s[0:1], s26, v11
	v_subb_co_u32_e32 v3, vcc, v14, v3, vcc
	v_cndmask_b32_e64 v16, v16, v17, s[2:3]
	v_subbrev_co_u32_e64 v9, s[0:1], 0, v9, s[0:1]
	v_cmp_le_u32_e32 vcc, s27, v3
	v_cmp_ne_u32_e64 s[0:1], 0, v16
	v_cndmask_b32_e64 v14, 0, -1, vcc
	v_cmp_le_u32_e32 vcc, s26, v8
	v_cndmask_b32_e64 v9, v15, v9, s[0:1]
	v_cndmask_b32_e64 v15, 0, -1, vcc
	v_cmp_eq_u32_e32 vcc, s27, v3
	v_cndmask_b32_e32 v14, v14, v15, vcc
	v_cmp_ne_u32_e32 vcc, 0, v14
	v_cndmask_b32_e32 v3, v3, v9, vcc
	v_cndmask_b32_e64 v9, v11, v10, s[0:1]
	v_cndmask_b32_e32 v8, v8, v9, vcc
	v_xor_b32_e32 v8, v8, v13
	v_xor_b32_e32 v3, v3, v13
	v_sub_co_u32_e32 v10, vcc, v8, v13
	v_subb_co_u32_e32 v11, vcc, v3, v13, vcc
                                        ; implicit-def: $vgpr8_vgpr9
.LBB38_11:                              ;   in Loop: Header=BB38_4 Depth=1
	s_andn2_saveexec_b64 s[0:1], s[24:25]
	s_cbranch_execz .LBB38_2
; %bb.12:                               ;   in Loop: Header=BB38_4 Depth=1
	v_cvt_f32_u32_e32 v3, s20
	s_sub_i32 s2, 0, s20
	v_mov_b32_e32 v11, v2
	v_rcp_iflag_f32_e32 v3, v3
	v_mul_f32_e32 v3, 0x4f7ffffe, v3
	v_cvt_u32_f32_e32 v3, v3
	v_mul_lo_u32 v9, s2, v3
	v_mul_hi_u32 v9, v3, v9
	v_add_u32_e32 v3, v3, v9
	v_mul_hi_u32 v3, v8, v3
	v_mul_lo_u32 v3, v3, s20
	v_sub_u32_e32 v3, v8, v3
	v_subrev_u32_e32 v8, s20, v3
	v_cmp_le_u32_e32 vcc, s20, v3
	v_cndmask_b32_e32 v3, v3, v8, vcc
	v_subrev_u32_e32 v8, s20, v3
	v_cmp_le_u32_e32 vcc, s20, v3
	v_cndmask_b32_e32 v10, v3, v8, vcc
	s_branch .LBB38_2
.LBB38_13:
	s_endpgm
	.section	.rodata,"a",@progbits
	.p2align	6, 0x0
	.amdhsa_kernel _ZN2at6native12_GLOBAL__N_121reflection_pad1d_flatIN3c107complexIdEEEEvPKT_PS6_lllll
		.amdhsa_group_segment_fixed_size 0
		.amdhsa_private_segment_fixed_size 0
		.amdhsa_kernarg_size 312
		.amdhsa_user_sgpr_count 6
		.amdhsa_user_sgpr_private_segment_buffer 1
		.amdhsa_user_sgpr_dispatch_ptr 0
		.amdhsa_user_sgpr_queue_ptr 0
		.amdhsa_user_sgpr_kernarg_segment_ptr 1
		.amdhsa_user_sgpr_dispatch_id 0
		.amdhsa_user_sgpr_flat_scratch_init 0
		.amdhsa_user_sgpr_kernarg_preload_length 0
		.amdhsa_user_sgpr_kernarg_preload_offset 0
		.amdhsa_user_sgpr_private_segment_size 0
		.amdhsa_uses_dynamic_stack 0
		.amdhsa_system_sgpr_private_segment_wavefront_offset 0
		.amdhsa_system_sgpr_workgroup_id_x 1
		.amdhsa_system_sgpr_workgroup_id_y 0
		.amdhsa_system_sgpr_workgroup_id_z 0
		.amdhsa_system_sgpr_workgroup_info 0
		.amdhsa_system_vgpr_workitem_id 0
		.amdhsa_next_free_vgpr 19
		.amdhsa_next_free_sgpr 32
		.amdhsa_accum_offset 20
		.amdhsa_reserve_vcc 1
		.amdhsa_reserve_flat_scratch 0
		.amdhsa_float_round_mode_32 0
		.amdhsa_float_round_mode_16_64 0
		.amdhsa_float_denorm_mode_32 3
		.amdhsa_float_denorm_mode_16_64 3
		.amdhsa_dx10_clamp 1
		.amdhsa_ieee_mode 1
		.amdhsa_fp16_overflow 0
		.amdhsa_tg_split 0
		.amdhsa_exception_fp_ieee_invalid_op 0
		.amdhsa_exception_fp_denorm_src 0
		.amdhsa_exception_fp_ieee_div_zero 0
		.amdhsa_exception_fp_ieee_overflow 0
		.amdhsa_exception_fp_ieee_underflow 0
		.amdhsa_exception_fp_ieee_inexact 0
		.amdhsa_exception_int_div_zero 0
	.end_amdhsa_kernel
	.section	.text._ZN2at6native12_GLOBAL__N_121reflection_pad1d_flatIN3c107complexIdEEEEvPKT_PS6_lllll,"axG",@progbits,_ZN2at6native12_GLOBAL__N_121reflection_pad1d_flatIN3c107complexIdEEEEvPKT_PS6_lllll,comdat
.Lfunc_end38:
	.size	_ZN2at6native12_GLOBAL__N_121reflection_pad1d_flatIN3c107complexIdEEEEvPKT_PS6_lllll, .Lfunc_end38-_ZN2at6native12_GLOBAL__N_121reflection_pad1d_flatIN3c107complexIdEEEEvPKT_PS6_lllll
                                        ; -- End function
	.section	.AMDGPU.csdata,"",@progbits
; Kernel info:
; codeLenInByte = 2040
; NumSgprs: 36
; NumVgprs: 19
; NumAgprs: 0
; TotalNumVgprs: 19
; ScratchSize: 0
; MemoryBound: 0
; FloatMode: 240
; IeeeMode: 1
; LDSByteSize: 0 bytes/workgroup (compile time only)
; SGPRBlocks: 4
; VGPRBlocks: 2
; NumSGPRsForWavesPerEU: 36
; NumVGPRsForWavesPerEU: 19
; AccumOffset: 20
; Occupancy: 8
; WaveLimiterHint : 0
; COMPUTE_PGM_RSRC2:SCRATCH_EN: 0
; COMPUTE_PGM_RSRC2:USER_SGPR: 6
; COMPUTE_PGM_RSRC2:TRAP_HANDLER: 0
; COMPUTE_PGM_RSRC2:TGID_X_EN: 1
; COMPUTE_PGM_RSRC2:TGID_Y_EN: 0
; COMPUTE_PGM_RSRC2:TGID_Z_EN: 0
; COMPUTE_PGM_RSRC2:TIDIG_COMP_CNT: 0
; COMPUTE_PGM_RSRC3_GFX90A:ACCUM_OFFSET: 4
; COMPUTE_PGM_RSRC3_GFX90A:TG_SPLIT: 0
	.section	.text._ZN2at6native12_GLOBAL__N_127reflection_pad1d_out_kernelIN3c107complexIfEEEEvPKT_PS6_lll,"axG",@progbits,_ZN2at6native12_GLOBAL__N_127reflection_pad1d_out_kernelIN3c107complexIfEEEEvPKT_PS6_lll,comdat
	.globl	_ZN2at6native12_GLOBAL__N_127reflection_pad1d_out_kernelIN3c107complexIfEEEEvPKT_PS6_lll ; -- Begin function _ZN2at6native12_GLOBAL__N_127reflection_pad1d_out_kernelIN3c107complexIfEEEEvPKT_PS6_lll
	.p2align	8
	.type	_ZN2at6native12_GLOBAL__N_127reflection_pad1d_out_kernelIN3c107complexIfEEEEvPKT_PS6_lll,@function
_ZN2at6native12_GLOBAL__N_127reflection_pad1d_out_kernelIN3c107complexIfEEEEvPKT_PS6_lll: ; @_ZN2at6native12_GLOBAL__N_127reflection_pad1d_out_kernelIN3c107complexIfEEEEvPKT_PS6_lll
; %bb.0:
	s_load_dword s9, s[4:5], 0x34
	s_load_dwordx2 s[0:1], s[4:5], 0x20
	s_load_dwordx8 s[12:19], s[4:5], 0x0
	s_add_u32 s2, s4, 40
	s_addc_u32 s3, s5, 0
	s_waitcnt lgkmcnt(0)
	s_and_b32 s4, s9, 0xffff
	v_mov_b32_e32 v1, 0
	v_mov_b32_e32 v2, s6
	v_mad_u64_u32 v[0:1], s[4:5], s4, v2, v[0:1]
	s_add_u32 s4, s18, s16
	s_addc_u32 s5, s19, s17
	s_add_u32 s0, s4, s0
	s_addc_u32 s1, s5, s1
	v_cmp_gt_i64_e32 vcc, s[0:1], v[0:1]
	s_and_saveexec_b64 s[10:11], vcc
	s_cbranch_execz .LBB39_2
; %bb.1:
	s_load_dword s6, s[2:3], 0x4
	s_sub_u32 s2, 0, s18
	v_mov_b32_e32 v2, s19
	v_subrev_co_u32_e32 v3, vcc, s18, v0
	s_waitcnt lgkmcnt(0)
	s_mul_i32 s6, s6, s8
	s_subb_u32 s3, 0, s19
	s_add_i32 s10, s6, s7
	v_subb_co_u32_e32 v2, vcc, v1, v2, vcc
	s_mul_i32 s7, s10, s17
	s_mul_hi_u32 s8, s10, s16
	v_ashrrev_i32_e32 v4, 31, v2
	s_add_i32 s7, s8, s7
	s_mul_i32 s1, s1, s10
	s_mul_hi_u32 s8, s0, s10
	v_xor_b32_e32 v5, v2, v4
	v_xor_b32_e32 v2, v3, v4
	s_add_i32 s1, s8, s1
	v_cmp_gt_i64_e64 s[8:9], s[2:3], 0
	v_sub_co_u32_e32 v2, vcc, v2, v4
	s_and_b64 s[8:9], s[8:9], exec
	v_subb_co_u32_e32 v3, vcc, v5, v4, vcc
	s_cselect_b32 s8, s3, 0
	s_cselect_b32 s9, s2, 0
	v_cmp_gt_i64_e64 s[2:3], s[18:19], 0
	v_mov_b32_e32 v4, s5
	v_subrev_co_u32_e32 v5, vcc, s4, v0
	s_and_b64 s[2:3], s[2:3], exec
	v_subb_co_u32_e32 v4, vcc, v1, v4, vcc
	s_cselect_b32 s3, s19, 0
	s_cselect_b32 s2, s18, 0
	v_add_co_u32_e32 v5, vcc, 1, v5
	v_addc_co_u32_e32 v4, vcc, 0, v4, vcc
	s_not_b64 s[2:3], s[2:3]
	v_ashrrev_i32_e32 v6, 31, v4
	s_add_u32 s4, s4, s18
	v_xor_b32_e32 v5, v5, v6
	s_addc_u32 s5, s5, s19
	v_xor_b32_e32 v4, v4, v6
	v_sub_co_u32_e32 v5, vcc, v5, v6
	s_add_u32 s2, s4, s2
	v_subb_co_u32_e32 v4, vcc, v4, v6, vcc
	s_addc_u32 s3, s5, s3
	s_add_u32 s2, s2, s9
	v_add_co_u32_e32 v5, vcc, v0, v5
	s_addc_u32 s3, s3, s8
	v_addc_co_u32_e32 v6, vcc, v1, v4, vcc
	v_mov_b32_e32 v7, s3
	v_sub_co_u32_e32 v4, vcc, s2, v5
	v_subb_co_u32_e32 v5, vcc, v7, v6, vcc
	v_lshlrev_b64 v[4:5], 3, v[4:5]
	v_mov_b32_e32 v6, s13
	v_add_co_u32_e32 v4, vcc, s12, v4
	v_addc_co_u32_e32 v5, vcc, v6, v5, vcc
	v_lshlrev_b64 v[2:3], 3, v[2:3]
	s_mul_i32 s6, s10, s16
	v_add_co_u32_e32 v2, vcc, v4, v2
	v_addc_co_u32_e32 v3, vcc, v5, v3, vcc
	s_lshl_b64 s[2:3], s[6:7], 3
	v_mov_b32_e32 v4, s3
	v_add_co_u32_e32 v2, vcc, s2, v2
	v_addc_co_u32_e32 v3, vcc, v3, v4, vcc
	global_load_dwordx2 v[2:3], v[2:3], off
	s_mul_i32 s0, s0, s10
	s_lshl_b64 s[0:1], s[0:1], 3
	s_add_u32 s0, s14, s0
	s_addc_u32 s1, s15, s1
	v_lshlrev_b64 v[0:1], 3, v[0:1]
	v_mov_b32_e32 v4, s1
	v_add_co_u32_e32 v0, vcc, s0, v0
	v_addc_co_u32_e32 v1, vcc, v4, v1, vcc
	s_waitcnt vmcnt(0)
	global_store_dwordx2 v[0:1], v[2:3], off
.LBB39_2:
	s_endpgm
	.section	.rodata,"a",@progbits
	.p2align	6, 0x0
	.amdhsa_kernel _ZN2at6native12_GLOBAL__N_127reflection_pad1d_out_kernelIN3c107complexIfEEEEvPKT_PS6_lll
		.amdhsa_group_segment_fixed_size 0
		.amdhsa_private_segment_fixed_size 0
		.amdhsa_kernarg_size 296
		.amdhsa_user_sgpr_count 6
		.amdhsa_user_sgpr_private_segment_buffer 1
		.amdhsa_user_sgpr_dispatch_ptr 0
		.amdhsa_user_sgpr_queue_ptr 0
		.amdhsa_user_sgpr_kernarg_segment_ptr 1
		.amdhsa_user_sgpr_dispatch_id 0
		.amdhsa_user_sgpr_flat_scratch_init 0
		.amdhsa_user_sgpr_kernarg_preload_length 0
		.amdhsa_user_sgpr_kernarg_preload_offset 0
		.amdhsa_user_sgpr_private_segment_size 0
		.amdhsa_uses_dynamic_stack 0
		.amdhsa_system_sgpr_private_segment_wavefront_offset 0
		.amdhsa_system_sgpr_workgroup_id_x 1
		.amdhsa_system_sgpr_workgroup_id_y 1
		.amdhsa_system_sgpr_workgroup_id_z 1
		.amdhsa_system_sgpr_workgroup_info 0
		.amdhsa_system_vgpr_workitem_id 0
		.amdhsa_next_free_vgpr 8
		.amdhsa_next_free_sgpr 20
		.amdhsa_accum_offset 8
		.amdhsa_reserve_vcc 1
		.amdhsa_reserve_flat_scratch 0
		.amdhsa_float_round_mode_32 0
		.amdhsa_float_round_mode_16_64 0
		.amdhsa_float_denorm_mode_32 3
		.amdhsa_float_denorm_mode_16_64 3
		.amdhsa_dx10_clamp 1
		.amdhsa_ieee_mode 1
		.amdhsa_fp16_overflow 0
		.amdhsa_tg_split 0
		.amdhsa_exception_fp_ieee_invalid_op 0
		.amdhsa_exception_fp_denorm_src 0
		.amdhsa_exception_fp_ieee_div_zero 0
		.amdhsa_exception_fp_ieee_overflow 0
		.amdhsa_exception_fp_ieee_underflow 0
		.amdhsa_exception_fp_ieee_inexact 0
		.amdhsa_exception_int_div_zero 0
	.end_amdhsa_kernel
	.section	.text._ZN2at6native12_GLOBAL__N_127reflection_pad1d_out_kernelIN3c107complexIfEEEEvPKT_PS6_lll,"axG",@progbits,_ZN2at6native12_GLOBAL__N_127reflection_pad1d_out_kernelIN3c107complexIfEEEEvPKT_PS6_lll,comdat
.Lfunc_end39:
	.size	_ZN2at6native12_GLOBAL__N_127reflection_pad1d_out_kernelIN3c107complexIfEEEEvPKT_PS6_lll, .Lfunc_end39-_ZN2at6native12_GLOBAL__N_127reflection_pad1d_out_kernelIN3c107complexIfEEEEvPKT_PS6_lll
                                        ; -- End function
	.section	.AMDGPU.csdata,"",@progbits
; Kernel info:
; codeLenInByte = 416
; NumSgprs: 24
; NumVgprs: 8
; NumAgprs: 0
; TotalNumVgprs: 8
; ScratchSize: 0
; MemoryBound: 0
; FloatMode: 240
; IeeeMode: 1
; LDSByteSize: 0 bytes/workgroup (compile time only)
; SGPRBlocks: 2
; VGPRBlocks: 0
; NumSGPRsForWavesPerEU: 24
; NumVGPRsForWavesPerEU: 8
; AccumOffset: 8
; Occupancy: 8
; WaveLimiterHint : 0
; COMPUTE_PGM_RSRC2:SCRATCH_EN: 0
; COMPUTE_PGM_RSRC2:USER_SGPR: 6
; COMPUTE_PGM_RSRC2:TRAP_HANDLER: 0
; COMPUTE_PGM_RSRC2:TGID_X_EN: 1
; COMPUTE_PGM_RSRC2:TGID_Y_EN: 1
; COMPUTE_PGM_RSRC2:TGID_Z_EN: 1
; COMPUTE_PGM_RSRC2:TIDIG_COMP_CNT: 0
; COMPUTE_PGM_RSRC3_GFX90A:ACCUM_OFFSET: 1
; COMPUTE_PGM_RSRC3_GFX90A:TG_SPLIT: 0
	.section	.text._ZN2at6native12_GLOBAL__N_121reflection_pad1d_flatIN3c107complexIfEEEEvPKT_PS6_lllll,"axG",@progbits,_ZN2at6native12_GLOBAL__N_121reflection_pad1d_flatIN3c107complexIfEEEEvPKT_PS6_lllll,comdat
	.globl	_ZN2at6native12_GLOBAL__N_121reflection_pad1d_flatIN3c107complexIfEEEEvPKT_PS6_lllll ; -- Begin function _ZN2at6native12_GLOBAL__N_121reflection_pad1d_flatIN3c107complexIfEEEEvPKT_PS6_lllll
	.p2align	8
	.type	_ZN2at6native12_GLOBAL__N_121reflection_pad1d_flatIN3c107complexIfEEEEvPKT_PS6_lllll,@function
_ZN2at6native12_GLOBAL__N_121reflection_pad1d_flatIN3c107complexIfEEEEvPKT_PS6_lllll: ; @_ZN2at6native12_GLOBAL__N_121reflection_pad1d_flatIN3c107complexIfEEEEvPKT_PS6_lllll
; %bb.0:
	s_load_dword s2, s[4:5], 0x44
	s_load_dwordx4 s[16:19], s[4:5], 0x28
	s_add_u32 s0, s4, 56
	v_mov_b32_e32 v2, 0
	s_addc_u32 s1, s5, 0
	s_waitcnt lgkmcnt(0)
	s_and_b32 s2, s2, 0xffff
	s_mul_i32 s3, s18, s17
	s_mul_hi_u32 s7, s18, s16
	v_mov_b32_e32 v1, v2
	s_add_i32 s3, s7, s3
	s_mul_i32 s7, s19, s16
	v_mov_b32_e32 v3, s6
	s_add_i32 s19, s3, s7
	s_mul_i32 s18, s18, s16
	v_mad_u64_u32 v[0:1], s[6:7], s2, v3, v[0:1]
	v_cmp_gt_i64_e32 vcc, s[18:19], v[0:1]
	s_and_saveexec_b64 s[6:7], vcc
	s_cbranch_execz .LBB40_13
; %bb.1:
	v_cvt_f32_u32_e32 v3, s16
	s_load_dword s3, s[0:1], 0x0
	s_load_dwordx8 s[8:15], s[4:5], 0x0
	v_lshlrev_b64 v[4:5], 3, v[0:1]
	s_mov_b64 s[4:5], 0
	v_rcp_iflag_f32_e32 v3, v3
	s_waitcnt lgkmcnt(0)
	s_mul_hi_u32 s7, s2, s3
	s_lshl_b64 s[0:1], s[12:13], 1
	s_add_u32 s20, s0, -2
	s_addc_u32 s21, s1, -1
	v_mul_f32_e32 v3, 0x4f7ffffe, v3
	s_sub_u32 s28, 0, s16
	v_cvt_u32_f32_e32 v12, v3
	s_subb_u32 s29, 0, s17
	s_mul_i32 s6, s2, s3
	s_sub_u32 s30, 0, s14
	v_mov_b32_e32 v6, s11
	v_add_co_u32_e32 v4, vcc, s10, v4
	v_cmp_gt_i64_e64 s[22:23], s[20:21], 0
	s_subb_u32 s31, 0, s15
	v_addc_co_u32_e32 v5, vcc, v6, v5, vcc
	s_lshl_b64 s[10:11], s[6:7], 3
	s_ashr_i32 s14, s17, 31
	s_branch .LBB40_4
.LBB40_2:                               ;   in Loop: Header=BB40_4 Depth=1
	s_or_b64 exec, exec, s[0:1]
	v_ashrrev_i32_e32 v3, 31, v11
	v_and_b32_e32 v9, s21, v3
	v_and_b32_e32 v3, s20, v3
	v_add_co_u32_e32 v8, vcc, v3, v10
	v_addc_co_u32_e32 v9, vcc, v9, v11, vcc
	v_mov_b32_e32 v3, s21
	v_sub_co_u32_e32 v10, vcc, s20, v8
	v_subb_co_u32_e32 v3, vcc, v3, v9, vcc
	v_cmp_gt_i64_e32 vcc, s[12:13], v[8:9]
	v_cndmask_b32_e32 v9, v3, v9, vcc
	v_cndmask_b32_e32 v8, v10, v8, vcc
.LBB40_3:                               ;   in Loop: Header=BB40_4 Depth=1
	v_mul_lo_u32 v3, v7, s12
	v_mul_lo_u32 v10, v6, s13
	v_mad_u64_u32 v[6:7], s[0:1], v6, s12, 0
	v_add3_u32 v7, v7, v10, v3
	v_lshlrev_b64 v[6:7], 3, v[6:7]
	v_mov_b32_e32 v3, s9
	v_add_co_u32_e32 v10, vcc, s8, v6
	v_addc_co_u32_e32 v3, vcc, v3, v7, vcc
	v_lshlrev_b64 v[6:7], 3, v[8:9]
	v_add_co_u32_e32 v6, vcc, v10, v6
	v_addc_co_u32_e32 v7, vcc, v3, v7, vcc
	global_load_dwordx2 v[6:7], v[6:7], off
	v_mov_b32_e32 v3, s7
	v_add_co_u32_e32 v0, vcc, s6, v0
	v_addc_co_u32_e32 v1, vcc, v1, v3, vcc
	v_cmp_le_i64_e32 vcc, s[18:19], v[0:1]
	v_mov_b32_e32 v8, s11
	s_or_b64 s[4:5], vcc, s[4:5]
	s_waitcnt vmcnt(0)
	global_store_dwordx2 v[4:5], v[6:7], off
	v_add_co_u32_e32 v4, vcc, s10, v4
	v_addc_co_u32_e32 v5, vcc, v5, v8, vcc
	s_andn2_b64 exec, exec, s[4:5]
	s_cbranch_execz .LBB40_13
.LBB40_4:                               ; =>This Inner Loop Header: Depth=1
	v_or_b32_e32 v3, s17, v1
	v_cmp_ne_u64_e32 vcc, 0, v[2:3]
                                        ; implicit-def: $vgpr6_vgpr7
	s_and_saveexec_b64 s[0:1], vcc
	s_xor_b64 s[2:3], exec, s[0:1]
	s_cbranch_execnz .LBB40_7
; %bb.5:                                ;   in Loop: Header=BB40_4 Depth=1
	s_andn2_saveexec_b64 s[0:1], s[2:3]
	s_cbranch_execnz .LBB40_8
.LBB40_6:                               ;   in Loop: Header=BB40_4 Depth=1
	s_or_b64 exec, exec, s[0:1]
	s_andn2_b64 vcc, exec, s[22:23]
	v_pk_mov_b32 v[8:9], 0, 0
	s_cbranch_vccnz .LBB40_3
	s_branch .LBB40_9
.LBB40_7:                               ;   in Loop: Header=BB40_4 Depth=1
	s_add_u32 s0, s16, s14
	s_mov_b32 s15, s14
	s_addc_u32 s1, s17, s14
	s_xor_b64 s[24:25], s[0:1], s[14:15]
	v_cvt_f32_u32_e32 v3, s24
	v_cvt_f32_u32_e32 v6, s25
	s_sub_u32 s0, 0, s24
	s_subb_u32 s1, 0, s25
	v_mac_f32_e32 v3, 0x4f800000, v6
	v_rcp_f32_e32 v3, v3
	v_mul_f32_e32 v3, 0x5f7ffffc, v3
	v_mul_f32_e32 v6, 0x2f800000, v3
	v_trunc_f32_e32 v6, v6
	v_mac_f32_e32 v3, 0xcf800000, v6
	v_cvt_u32_f32_e32 v6, v6
	v_cvt_u32_f32_e32 v3, v3
	v_mul_lo_u32 v7, s0, v6
	v_mul_hi_u32 v9, s0, v3
	v_mul_lo_u32 v8, s1, v3
	v_add_u32_e32 v7, v9, v7
	v_mul_lo_u32 v10, s0, v3
	v_add_u32_e32 v7, v7, v8
	v_mul_lo_u32 v9, v3, v7
	v_mul_hi_u32 v11, v3, v10
	v_mul_hi_u32 v8, v3, v7
	v_add_co_u32_e32 v9, vcc, v11, v9
	v_addc_co_u32_e32 v8, vcc, 0, v8, vcc
	v_mul_hi_u32 v13, v6, v10
	v_mul_lo_u32 v10, v6, v10
	v_add_co_u32_e32 v9, vcc, v9, v10
	v_mul_hi_u32 v11, v6, v7
	v_addc_co_u32_e32 v8, vcc, v8, v13, vcc
	v_addc_co_u32_e32 v9, vcc, 0, v11, vcc
	v_mul_lo_u32 v7, v6, v7
	v_add_co_u32_e32 v7, vcc, v8, v7
	v_addc_co_u32_e32 v8, vcc, 0, v9, vcc
	v_add_co_u32_e32 v3, vcc, v3, v7
	v_addc_co_u32_e32 v6, vcc, v6, v8, vcc
	v_mul_lo_u32 v7, s0, v6
	v_mul_hi_u32 v8, s0, v3
	v_add_u32_e32 v7, v8, v7
	v_mul_lo_u32 v8, s1, v3
	v_add_u32_e32 v7, v7, v8
	v_mul_lo_u32 v9, s0, v3
	v_mul_hi_u32 v10, v6, v9
	v_mul_lo_u32 v11, v6, v9
	v_mul_lo_u32 v14, v3, v7
	v_mul_hi_u32 v9, v3, v9
	v_mul_hi_u32 v13, v3, v7
	v_add_co_u32_e32 v9, vcc, v9, v14
	v_addc_co_u32_e32 v13, vcc, 0, v13, vcc
	v_add_co_u32_e32 v9, vcc, v9, v11
	v_mul_hi_u32 v8, v6, v7
	v_addc_co_u32_e32 v9, vcc, v13, v10, vcc
	v_addc_co_u32_e32 v8, vcc, 0, v8, vcc
	v_mul_lo_u32 v7, v6, v7
	v_add_co_u32_e32 v7, vcc, v9, v7
	v_addc_co_u32_e32 v8, vcc, 0, v8, vcc
	v_add_co_u32_e32 v3, vcc, v3, v7
	v_addc_co_u32_e32 v8, vcc, v6, v8, vcc
	v_ashrrev_i32_e32 v10, 31, v1
	v_add_co_u32_e32 v6, vcc, v0, v10
	v_addc_co_u32_e32 v7, vcc, v1, v10, vcc
	v_xor_b32_e32 v13, v6, v10
	v_xor_b32_e32 v11, v7, v10
	v_mad_u64_u32 v[6:7], s[0:1], v13, v8, 0
	v_mul_hi_u32 v9, v13, v3
	v_add_co_u32_e32 v14, vcc, v9, v6
	v_addc_co_u32_e32 v15, vcc, 0, v7, vcc
	v_mad_u64_u32 v[6:7], s[0:1], v11, v8, 0
	v_mad_u64_u32 v[8:9], s[0:1], v11, v3, 0
	v_add_co_u32_e32 v3, vcc, v14, v8
	v_addc_co_u32_e32 v3, vcc, v15, v9, vcc
	v_addc_co_u32_e32 v7, vcc, 0, v7, vcc
	v_add_co_u32_e32 v3, vcc, v3, v6
	v_addc_co_u32_e32 v8, vcc, 0, v7, vcc
	v_mul_lo_u32 v9, s25, v3
	v_mul_lo_u32 v14, s24, v8
	v_mad_u64_u32 v[6:7], s[0:1], s24, v3, 0
	v_add3_u32 v7, v7, v14, v9
	v_sub_u32_e32 v9, v11, v7
	v_mov_b32_e32 v14, s25
	v_sub_co_u32_e32 v6, vcc, v13, v6
	v_subb_co_u32_e64 v9, s[0:1], v9, v14, vcc
	v_subrev_co_u32_e64 v13, s[0:1], s24, v6
	v_subbrev_co_u32_e64 v9, s[0:1], 0, v9, s[0:1]
	v_cmp_le_u32_e64 s[0:1], s25, v9
	v_cndmask_b32_e64 v14, 0, -1, s[0:1]
	v_cmp_le_u32_e64 s[0:1], s24, v13
	v_cndmask_b32_e64 v13, 0, -1, s[0:1]
	v_cmp_eq_u32_e64 s[0:1], s25, v9
	v_cndmask_b32_e64 v9, v14, v13, s[0:1]
	v_add_co_u32_e64 v13, s[0:1], 2, v3
	v_subb_co_u32_e32 v7, vcc, v11, v7, vcc
	v_addc_co_u32_e64 v14, s[0:1], 0, v8, s[0:1]
	v_cmp_le_u32_e32 vcc, s25, v7
	v_add_co_u32_e64 v15, s[0:1], 1, v3
	v_cndmask_b32_e64 v11, 0, -1, vcc
	v_cmp_le_u32_e32 vcc, s24, v6
	v_addc_co_u32_e64 v16, s[0:1], 0, v8, s[0:1]
	v_cndmask_b32_e64 v6, 0, -1, vcc
	v_cmp_eq_u32_e32 vcc, s25, v7
	v_cmp_ne_u32_e64 s[0:1], 0, v9
	v_cndmask_b32_e32 v6, v11, v6, vcc
	v_cmp_ne_u32_e32 vcc, 0, v6
	v_cndmask_b32_e64 v7, v15, v13, s[0:1]
	v_cndmask_b32_e64 v9, v16, v14, s[0:1]
	v_cndmask_b32_e32 v3, v3, v7, vcc
	v_xor_b32_e32 v7, s14, v10
	v_cndmask_b32_e32 v6, v8, v9, vcc
	v_xor_b32_e32 v3, v3, v7
	v_xor_b32_e32 v8, v6, v7
	v_sub_co_u32_e32 v6, vcc, v3, v7
	v_subb_co_u32_e32 v7, vcc, v8, v7, vcc
	s_andn2_saveexec_b64 s[0:1], s[2:3]
	s_cbranch_execz .LBB40_6
.LBB40_8:                               ;   in Loop: Header=BB40_4 Depth=1
	s_sub_i32 s2, 0, s16
	v_mul_lo_u32 v3, s2, v12
	v_mul_hi_u32 v3, v12, v3
	v_add_u32_e32 v3, v12, v3
	v_mul_hi_u32 v3, v0, v3
	v_mul_lo_u32 v6, v3, s16
	v_sub_u32_e32 v6, v0, v6
	v_subrev_u32_e32 v7, s16, v6
	v_cmp_le_u32_e32 vcc, s16, v6
	v_cndmask_b32_e32 v6, v6, v7, vcc
	v_add_u32_e32 v7, 1, v3
	v_cndmask_b32_e32 v3, v3, v7, vcc
	v_add_u32_e32 v7, 1, v3
	v_cmp_le_u32_e32 vcc, s16, v6
	v_cndmask_b32_e32 v6, v3, v7, vcc
	v_mov_b32_e32 v7, v2
	s_or_b64 exec, exec, s[0:1]
	s_andn2_b64 vcc, exec, s[22:23]
	v_pk_mov_b32 v[8:9], 0, 0
	s_cbranch_vccnz .LBB40_3
.LBB40_9:                               ;   in Loop: Header=BB40_4 Depth=1
	v_mov_b32_e32 v3, s31
	v_add_co_u32_e32 v8, vcc, s30, v0
	v_addc_co_u32_e32 v9, vcc, v3, v1, vcc
	v_mul_lo_u32 v3, s28, v7
	v_mul_lo_u32 v10, s29, v6
	v_mad_u64_u32 v[8:9], s[0:1], s28, v6, v[8:9]
	v_add3_u32 v9, v10, v9, v3
	v_or_b32_e32 v3, s21, v9
	v_cmp_ne_u64_e32 vcc, 0, v[2:3]
                                        ; implicit-def: $vgpr10_vgpr11
	s_and_saveexec_b64 s[0:1], vcc
	s_xor_b64 s[24:25], exec, s[0:1]
	s_cbranch_execz .LBB40_11
; %bb.10:                               ;   in Loop: Header=BB40_4 Depth=1
	s_ashr_i32 s0, s21, 31
	s_add_u32 s2, s20, s0
	s_mov_b32 s1, s0
	s_addc_u32 s3, s21, s0
	s_xor_b64 s[26:27], s[2:3], s[0:1]
	v_cvt_f32_u32_e32 v3, s26
	v_cvt_f32_u32_e32 v10, s27
	s_sub_u32 s0, 0, s26
	s_subb_u32 s1, 0, s27
	v_mac_f32_e32 v3, 0x4f800000, v10
	v_rcp_f32_e32 v3, v3
	v_mul_f32_e32 v3, 0x5f7ffffc, v3
	v_mul_f32_e32 v10, 0x2f800000, v3
	v_trunc_f32_e32 v10, v10
	v_mac_f32_e32 v3, 0xcf800000, v10
	v_cvt_u32_f32_e32 v10, v10
	v_cvt_u32_f32_e32 v3, v3
	v_mul_lo_u32 v11, s0, v10
	v_mul_hi_u32 v14, s0, v3
	v_mul_lo_u32 v13, s1, v3
	v_add_u32_e32 v11, v14, v11
	v_mul_lo_u32 v15, s0, v3
	v_add_u32_e32 v11, v11, v13
	v_mul_lo_u32 v14, v3, v11
	v_mul_hi_u32 v16, v3, v15
	v_mul_hi_u32 v13, v3, v11
	v_add_co_u32_e32 v14, vcc, v16, v14
	v_addc_co_u32_e32 v13, vcc, 0, v13, vcc
	v_mul_hi_u32 v17, v10, v15
	v_mul_lo_u32 v15, v10, v15
	v_add_co_u32_e32 v14, vcc, v14, v15
	v_mul_hi_u32 v16, v10, v11
	v_addc_co_u32_e32 v13, vcc, v13, v17, vcc
	v_addc_co_u32_e32 v14, vcc, 0, v16, vcc
	v_mul_lo_u32 v11, v10, v11
	v_add_co_u32_e32 v11, vcc, v13, v11
	v_addc_co_u32_e32 v13, vcc, 0, v14, vcc
	v_add_co_u32_e32 v3, vcc, v3, v11
	v_addc_co_u32_e32 v10, vcc, v10, v13, vcc
	v_mul_lo_u32 v11, s0, v10
	v_mul_hi_u32 v13, s0, v3
	v_add_u32_e32 v11, v13, v11
	v_mul_lo_u32 v13, s1, v3
	v_add_u32_e32 v11, v11, v13
	v_mul_lo_u32 v14, s0, v3
	v_mul_hi_u32 v15, v10, v14
	v_mul_lo_u32 v16, v10, v14
	v_mul_lo_u32 v18, v3, v11
	v_mul_hi_u32 v14, v3, v14
	v_mul_hi_u32 v17, v3, v11
	v_add_co_u32_e32 v14, vcc, v14, v18
	v_addc_co_u32_e32 v17, vcc, 0, v17, vcc
	v_add_co_u32_e32 v14, vcc, v14, v16
	v_mul_hi_u32 v13, v10, v11
	v_addc_co_u32_e32 v14, vcc, v17, v15, vcc
	v_addc_co_u32_e32 v13, vcc, 0, v13, vcc
	v_mul_lo_u32 v11, v10, v11
	v_add_co_u32_e32 v11, vcc, v14, v11
	v_addc_co_u32_e32 v13, vcc, 0, v13, vcc
	v_add_co_u32_e32 v3, vcc, v3, v11
	v_addc_co_u32_e32 v10, vcc, v10, v13, vcc
	v_ashrrev_i32_e32 v13, 31, v9
	v_add_co_u32_e32 v8, vcc, v8, v13
	v_addc_co_u32_e32 v9, vcc, v9, v13, vcc
	v_xor_b32_e32 v15, v8, v13
	v_xor_b32_e32 v14, v9, v13
	v_mad_u64_u32 v[8:9], s[0:1], v15, v10, 0
	v_mul_hi_u32 v11, v15, v3
	v_add_co_u32_e32 v16, vcc, v11, v8
	v_addc_co_u32_e32 v17, vcc, 0, v9, vcc
	v_mad_u64_u32 v[8:9], s[0:1], v14, v10, 0
	v_mad_u64_u32 v[10:11], s[0:1], v14, v3, 0
	v_add_co_u32_e32 v3, vcc, v16, v10
	v_addc_co_u32_e32 v3, vcc, v17, v11, vcc
	v_addc_co_u32_e32 v9, vcc, 0, v9, vcc
	v_add_co_u32_e32 v3, vcc, v3, v8
	v_addc_co_u32_e32 v8, vcc, 0, v9, vcc
	v_mul_lo_u32 v10, s27, v3
	v_mul_lo_u32 v11, s26, v8
	v_mad_u64_u32 v[8:9], s[0:1], s26, v3, 0
	v_add3_u32 v3, v9, v11, v10
	v_sub_u32_e32 v9, v14, v3
	v_mov_b32_e32 v10, s27
	v_sub_co_u32_e32 v8, vcc, v15, v8
	v_subb_co_u32_e64 v9, s[0:1], v9, v10, vcc
	v_subrev_co_u32_e64 v11, s[0:1], s26, v8
	v_subbrev_co_u32_e64 v15, s[2:3], 0, v9, s[0:1]
	v_cmp_le_u32_e64 s[2:3], s27, v15
	v_cndmask_b32_e64 v16, 0, -1, s[2:3]
	v_cmp_le_u32_e64 s[2:3], s26, v11
	v_subb_co_u32_e64 v9, s[0:1], v9, v10, s[0:1]
	v_cndmask_b32_e64 v17, 0, -1, s[2:3]
	v_cmp_eq_u32_e64 s[2:3], s27, v15
	v_subrev_co_u32_e64 v10, s[0:1], s26, v11
	v_subb_co_u32_e32 v3, vcc, v14, v3, vcc
	v_cndmask_b32_e64 v16, v16, v17, s[2:3]
	v_subbrev_co_u32_e64 v9, s[0:1], 0, v9, s[0:1]
	v_cmp_le_u32_e32 vcc, s27, v3
	v_cmp_ne_u32_e64 s[0:1], 0, v16
	v_cndmask_b32_e64 v14, 0, -1, vcc
	v_cmp_le_u32_e32 vcc, s26, v8
	v_cndmask_b32_e64 v9, v15, v9, s[0:1]
	v_cndmask_b32_e64 v15, 0, -1, vcc
	v_cmp_eq_u32_e32 vcc, s27, v3
	v_cndmask_b32_e32 v14, v14, v15, vcc
	v_cmp_ne_u32_e32 vcc, 0, v14
	v_cndmask_b32_e32 v3, v3, v9, vcc
	v_cndmask_b32_e64 v9, v11, v10, s[0:1]
	v_cndmask_b32_e32 v8, v8, v9, vcc
	v_xor_b32_e32 v8, v8, v13
	v_xor_b32_e32 v3, v3, v13
	v_sub_co_u32_e32 v10, vcc, v8, v13
	v_subb_co_u32_e32 v11, vcc, v3, v13, vcc
                                        ; implicit-def: $vgpr8_vgpr9
.LBB40_11:                              ;   in Loop: Header=BB40_4 Depth=1
	s_andn2_saveexec_b64 s[0:1], s[24:25]
	s_cbranch_execz .LBB40_2
; %bb.12:                               ;   in Loop: Header=BB40_4 Depth=1
	v_cvt_f32_u32_e32 v3, s20
	s_sub_i32 s2, 0, s20
	v_mov_b32_e32 v11, v2
	v_rcp_iflag_f32_e32 v3, v3
	v_mul_f32_e32 v3, 0x4f7ffffe, v3
	v_cvt_u32_f32_e32 v3, v3
	v_mul_lo_u32 v9, s2, v3
	v_mul_hi_u32 v9, v3, v9
	v_add_u32_e32 v3, v3, v9
	v_mul_hi_u32 v3, v8, v3
	v_mul_lo_u32 v3, v3, s20
	v_sub_u32_e32 v3, v8, v3
	v_subrev_u32_e32 v8, s20, v3
	v_cmp_le_u32_e32 vcc, s20, v3
	v_cndmask_b32_e32 v3, v3, v8, vcc
	v_subrev_u32_e32 v8, s20, v3
	v_cmp_le_u32_e32 vcc, s20, v3
	v_cndmask_b32_e32 v10, v3, v8, vcc
	s_branch .LBB40_2
.LBB40_13:
	s_endpgm
	.section	.rodata,"a",@progbits
	.p2align	6, 0x0
	.amdhsa_kernel _ZN2at6native12_GLOBAL__N_121reflection_pad1d_flatIN3c107complexIfEEEEvPKT_PS6_lllll
		.amdhsa_group_segment_fixed_size 0
		.amdhsa_private_segment_fixed_size 0
		.amdhsa_kernarg_size 312
		.amdhsa_user_sgpr_count 6
		.amdhsa_user_sgpr_private_segment_buffer 1
		.amdhsa_user_sgpr_dispatch_ptr 0
		.amdhsa_user_sgpr_queue_ptr 0
		.amdhsa_user_sgpr_kernarg_segment_ptr 1
		.amdhsa_user_sgpr_dispatch_id 0
		.amdhsa_user_sgpr_flat_scratch_init 0
		.amdhsa_user_sgpr_kernarg_preload_length 0
		.amdhsa_user_sgpr_kernarg_preload_offset 0
		.amdhsa_user_sgpr_private_segment_size 0
		.amdhsa_uses_dynamic_stack 0
		.amdhsa_system_sgpr_private_segment_wavefront_offset 0
		.amdhsa_system_sgpr_workgroup_id_x 1
		.amdhsa_system_sgpr_workgroup_id_y 0
		.amdhsa_system_sgpr_workgroup_id_z 0
		.amdhsa_system_sgpr_workgroup_info 0
		.amdhsa_system_vgpr_workitem_id 0
		.amdhsa_next_free_vgpr 19
		.amdhsa_next_free_sgpr 32
		.amdhsa_accum_offset 20
		.amdhsa_reserve_vcc 1
		.amdhsa_reserve_flat_scratch 0
		.amdhsa_float_round_mode_32 0
		.amdhsa_float_round_mode_16_64 0
		.amdhsa_float_denorm_mode_32 3
		.amdhsa_float_denorm_mode_16_64 3
		.amdhsa_dx10_clamp 1
		.amdhsa_ieee_mode 1
		.amdhsa_fp16_overflow 0
		.amdhsa_tg_split 0
		.amdhsa_exception_fp_ieee_invalid_op 0
		.amdhsa_exception_fp_denorm_src 0
		.amdhsa_exception_fp_ieee_div_zero 0
		.amdhsa_exception_fp_ieee_overflow 0
		.amdhsa_exception_fp_ieee_underflow 0
		.amdhsa_exception_fp_ieee_inexact 0
		.amdhsa_exception_int_div_zero 0
	.end_amdhsa_kernel
	.section	.text._ZN2at6native12_GLOBAL__N_121reflection_pad1d_flatIN3c107complexIfEEEEvPKT_PS6_lllll,"axG",@progbits,_ZN2at6native12_GLOBAL__N_121reflection_pad1d_flatIN3c107complexIfEEEEvPKT_PS6_lllll,comdat
.Lfunc_end40:
	.size	_ZN2at6native12_GLOBAL__N_121reflection_pad1d_flatIN3c107complexIfEEEEvPKT_PS6_lllll, .Lfunc_end40-_ZN2at6native12_GLOBAL__N_121reflection_pad1d_flatIN3c107complexIfEEEEvPKT_PS6_lllll
                                        ; -- End function
	.section	.AMDGPU.csdata,"",@progbits
; Kernel info:
; codeLenInByte = 2040
; NumSgprs: 36
; NumVgprs: 19
; NumAgprs: 0
; TotalNumVgprs: 19
; ScratchSize: 0
; MemoryBound: 0
; FloatMode: 240
; IeeeMode: 1
; LDSByteSize: 0 bytes/workgroup (compile time only)
; SGPRBlocks: 4
; VGPRBlocks: 2
; NumSGPRsForWavesPerEU: 36
; NumVGPRsForWavesPerEU: 19
; AccumOffset: 20
; Occupancy: 8
; WaveLimiterHint : 0
; COMPUTE_PGM_RSRC2:SCRATCH_EN: 0
; COMPUTE_PGM_RSRC2:USER_SGPR: 6
; COMPUTE_PGM_RSRC2:TRAP_HANDLER: 0
; COMPUTE_PGM_RSRC2:TGID_X_EN: 1
; COMPUTE_PGM_RSRC2:TGID_Y_EN: 0
; COMPUTE_PGM_RSRC2:TGID_Z_EN: 0
; COMPUTE_PGM_RSRC2:TIDIG_COMP_CNT: 0
; COMPUTE_PGM_RSRC3_GFX90A:ACCUM_OFFSET: 4
; COMPUTE_PGM_RSRC3_GFX90A:TG_SPLIT: 0
	.section	.text._ZN2at6native12_GLOBAL__N_127reflection_pad1d_out_kernelIN3c104HalfEEEvPKT_PS5_lll,"axG",@progbits,_ZN2at6native12_GLOBAL__N_127reflection_pad1d_out_kernelIN3c104HalfEEEvPKT_PS5_lll,comdat
	.globl	_ZN2at6native12_GLOBAL__N_127reflection_pad1d_out_kernelIN3c104HalfEEEvPKT_PS5_lll ; -- Begin function _ZN2at6native12_GLOBAL__N_127reflection_pad1d_out_kernelIN3c104HalfEEEvPKT_PS5_lll
	.p2align	8
	.type	_ZN2at6native12_GLOBAL__N_127reflection_pad1d_out_kernelIN3c104HalfEEEvPKT_PS5_lll,@function
_ZN2at6native12_GLOBAL__N_127reflection_pad1d_out_kernelIN3c104HalfEEEvPKT_PS5_lll: ; @_ZN2at6native12_GLOBAL__N_127reflection_pad1d_out_kernelIN3c104HalfEEEvPKT_PS5_lll
; %bb.0:
	s_load_dword s9, s[4:5], 0x34
	s_load_dwordx2 s[0:1], s[4:5], 0x20
	s_load_dwordx8 s[12:19], s[4:5], 0x0
	s_add_u32 s2, s4, 40
	s_addc_u32 s3, s5, 0
	s_waitcnt lgkmcnt(0)
	s_and_b32 s4, s9, 0xffff
	v_mov_b32_e32 v1, 0
	v_mov_b32_e32 v2, s6
	v_mad_u64_u32 v[0:1], s[4:5], s4, v2, v[0:1]
	s_add_u32 s4, s18, s16
	s_addc_u32 s5, s19, s17
	s_add_u32 s0, s4, s0
	s_addc_u32 s1, s5, s1
	v_cmp_gt_i64_e32 vcc, s[0:1], v[0:1]
	s_and_saveexec_b64 s[10:11], vcc
	s_cbranch_execz .LBB41_2
; %bb.1:
	s_load_dword s6, s[2:3], 0x4
	s_sub_u32 s2, 0, s18
	v_mov_b32_e32 v2, s19
	v_subrev_co_u32_e32 v3, vcc, s18, v0
	s_waitcnt lgkmcnt(0)
	s_mul_i32 s6, s6, s8
	s_subb_u32 s3, 0, s19
	s_add_i32 s10, s6, s7
	v_subb_co_u32_e32 v2, vcc, v1, v2, vcc
	s_mul_i32 s7, s10, s17
	s_mul_hi_u32 s8, s10, s16
	v_ashrrev_i32_e32 v4, 31, v2
	s_add_i32 s7, s8, s7
	s_mul_i32 s1, s1, s10
	s_mul_hi_u32 s8, s0, s10
	v_xor_b32_e32 v5, v2, v4
	v_xor_b32_e32 v2, v3, v4
	s_add_i32 s1, s8, s1
	v_cmp_gt_i64_e64 s[8:9], s[2:3], 0
	v_sub_co_u32_e32 v2, vcc, v2, v4
	s_and_b64 s[8:9], s[8:9], exec
	v_subb_co_u32_e32 v3, vcc, v5, v4, vcc
	s_cselect_b32 s8, s3, 0
	s_cselect_b32 s9, s2, 0
	v_cmp_gt_i64_e64 s[2:3], s[18:19], 0
	v_mov_b32_e32 v4, s5
	v_subrev_co_u32_e32 v5, vcc, s4, v0
	s_and_b64 s[2:3], s[2:3], exec
	v_subb_co_u32_e32 v4, vcc, v1, v4, vcc
	s_cselect_b32 s3, s19, 0
	s_cselect_b32 s2, s18, 0
	v_add_co_u32_e32 v5, vcc, 1, v5
	v_addc_co_u32_e32 v4, vcc, 0, v4, vcc
	s_not_b64 s[2:3], s[2:3]
	v_ashrrev_i32_e32 v6, 31, v4
	s_add_u32 s4, s4, s18
	v_xor_b32_e32 v5, v5, v6
	s_addc_u32 s5, s5, s19
	v_xor_b32_e32 v4, v4, v6
	v_sub_co_u32_e32 v5, vcc, v5, v6
	s_add_u32 s2, s4, s2
	v_subb_co_u32_e32 v4, vcc, v4, v6, vcc
	s_addc_u32 s3, s5, s3
	s_add_u32 s2, s2, s9
	v_add_co_u32_e32 v5, vcc, v0, v5
	s_addc_u32 s3, s3, s8
	v_addc_co_u32_e32 v6, vcc, v1, v4, vcc
	v_mov_b32_e32 v7, s3
	v_sub_co_u32_e32 v4, vcc, s2, v5
	v_subb_co_u32_e32 v5, vcc, v7, v6, vcc
	v_lshlrev_b64 v[4:5], 1, v[4:5]
	v_mov_b32_e32 v6, s13
	v_add_co_u32_e32 v4, vcc, s12, v4
	v_addc_co_u32_e32 v5, vcc, v6, v5, vcc
	v_lshlrev_b64 v[2:3], 1, v[2:3]
	s_mul_i32 s6, s10, s16
	v_add_co_u32_e32 v2, vcc, v4, v2
	v_addc_co_u32_e32 v3, vcc, v5, v3, vcc
	s_lshl_b64 s[2:3], s[6:7], 1
	v_mov_b32_e32 v4, s3
	v_add_co_u32_e32 v2, vcc, s2, v2
	v_addc_co_u32_e32 v3, vcc, v3, v4, vcc
	global_load_ushort v2, v[2:3], off
	s_mul_i32 s0, s0, s10
	s_lshl_b64 s[0:1], s[0:1], 1
	s_add_u32 s0, s14, s0
	s_addc_u32 s1, s15, s1
	v_lshlrev_b64 v[0:1], 1, v[0:1]
	v_mov_b32_e32 v3, s1
	v_add_co_u32_e32 v0, vcc, s0, v0
	v_addc_co_u32_e32 v1, vcc, v3, v1, vcc
	s_waitcnt vmcnt(0)
	global_store_short v[0:1], v2, off
.LBB41_2:
	s_endpgm
	.section	.rodata,"a",@progbits
	.p2align	6, 0x0
	.amdhsa_kernel _ZN2at6native12_GLOBAL__N_127reflection_pad1d_out_kernelIN3c104HalfEEEvPKT_PS5_lll
		.amdhsa_group_segment_fixed_size 0
		.amdhsa_private_segment_fixed_size 0
		.amdhsa_kernarg_size 296
		.amdhsa_user_sgpr_count 6
		.amdhsa_user_sgpr_private_segment_buffer 1
		.amdhsa_user_sgpr_dispatch_ptr 0
		.amdhsa_user_sgpr_queue_ptr 0
		.amdhsa_user_sgpr_kernarg_segment_ptr 1
		.amdhsa_user_sgpr_dispatch_id 0
		.amdhsa_user_sgpr_flat_scratch_init 0
		.amdhsa_user_sgpr_kernarg_preload_length 0
		.amdhsa_user_sgpr_kernarg_preload_offset 0
		.amdhsa_user_sgpr_private_segment_size 0
		.amdhsa_uses_dynamic_stack 0
		.amdhsa_system_sgpr_private_segment_wavefront_offset 0
		.amdhsa_system_sgpr_workgroup_id_x 1
		.amdhsa_system_sgpr_workgroup_id_y 1
		.amdhsa_system_sgpr_workgroup_id_z 1
		.amdhsa_system_sgpr_workgroup_info 0
		.amdhsa_system_vgpr_workitem_id 0
		.amdhsa_next_free_vgpr 8
		.amdhsa_next_free_sgpr 20
		.amdhsa_accum_offset 8
		.amdhsa_reserve_vcc 1
		.amdhsa_reserve_flat_scratch 0
		.amdhsa_float_round_mode_32 0
		.amdhsa_float_round_mode_16_64 0
		.amdhsa_float_denorm_mode_32 3
		.amdhsa_float_denorm_mode_16_64 3
		.amdhsa_dx10_clamp 1
		.amdhsa_ieee_mode 1
		.amdhsa_fp16_overflow 0
		.amdhsa_tg_split 0
		.amdhsa_exception_fp_ieee_invalid_op 0
		.amdhsa_exception_fp_denorm_src 0
		.amdhsa_exception_fp_ieee_div_zero 0
		.amdhsa_exception_fp_ieee_overflow 0
		.amdhsa_exception_fp_ieee_underflow 0
		.amdhsa_exception_fp_ieee_inexact 0
		.amdhsa_exception_int_div_zero 0
	.end_amdhsa_kernel
	.section	.text._ZN2at6native12_GLOBAL__N_127reflection_pad1d_out_kernelIN3c104HalfEEEvPKT_PS5_lll,"axG",@progbits,_ZN2at6native12_GLOBAL__N_127reflection_pad1d_out_kernelIN3c104HalfEEEvPKT_PS5_lll,comdat
.Lfunc_end41:
	.size	_ZN2at6native12_GLOBAL__N_127reflection_pad1d_out_kernelIN3c104HalfEEEvPKT_PS5_lll, .Lfunc_end41-_ZN2at6native12_GLOBAL__N_127reflection_pad1d_out_kernelIN3c104HalfEEEvPKT_PS5_lll
                                        ; -- End function
	.section	.AMDGPU.csdata,"",@progbits
; Kernel info:
; codeLenInByte = 416
; NumSgprs: 24
; NumVgprs: 8
; NumAgprs: 0
; TotalNumVgprs: 8
; ScratchSize: 0
; MemoryBound: 0
; FloatMode: 240
; IeeeMode: 1
; LDSByteSize: 0 bytes/workgroup (compile time only)
; SGPRBlocks: 2
; VGPRBlocks: 0
; NumSGPRsForWavesPerEU: 24
; NumVGPRsForWavesPerEU: 8
; AccumOffset: 8
; Occupancy: 8
; WaveLimiterHint : 0
; COMPUTE_PGM_RSRC2:SCRATCH_EN: 0
; COMPUTE_PGM_RSRC2:USER_SGPR: 6
; COMPUTE_PGM_RSRC2:TRAP_HANDLER: 0
; COMPUTE_PGM_RSRC2:TGID_X_EN: 1
; COMPUTE_PGM_RSRC2:TGID_Y_EN: 1
; COMPUTE_PGM_RSRC2:TGID_Z_EN: 1
; COMPUTE_PGM_RSRC2:TIDIG_COMP_CNT: 0
; COMPUTE_PGM_RSRC3_GFX90A:ACCUM_OFFSET: 1
; COMPUTE_PGM_RSRC3_GFX90A:TG_SPLIT: 0
	.section	.text._ZN2at6native12_GLOBAL__N_121reflection_pad1d_flatIN3c104HalfEEEvPKT_PS5_lllll,"axG",@progbits,_ZN2at6native12_GLOBAL__N_121reflection_pad1d_flatIN3c104HalfEEEvPKT_PS5_lllll,comdat
	.globl	_ZN2at6native12_GLOBAL__N_121reflection_pad1d_flatIN3c104HalfEEEvPKT_PS5_lllll ; -- Begin function _ZN2at6native12_GLOBAL__N_121reflection_pad1d_flatIN3c104HalfEEEvPKT_PS5_lllll
	.p2align	8
	.type	_ZN2at6native12_GLOBAL__N_121reflection_pad1d_flatIN3c104HalfEEEvPKT_PS5_lllll,@function
_ZN2at6native12_GLOBAL__N_121reflection_pad1d_flatIN3c104HalfEEEvPKT_PS5_lllll: ; @_ZN2at6native12_GLOBAL__N_121reflection_pad1d_flatIN3c104HalfEEEvPKT_PS5_lllll
; %bb.0:
	s_load_dword s2, s[4:5], 0x44
	s_load_dwordx4 s[8:11], s[4:5], 0x28
	s_add_u32 s0, s4, 56
	s_addc_u32 s1, s5, 0
	v_mov_b32_e32 v1, 0
	s_waitcnt lgkmcnt(0)
	s_and_b32 s7, s2, 0xffff
	s_mul_i32 s2, s10, s9
	s_mul_hi_u32 s12, s10, s8
	s_add_i32 s2, s12, s2
	s_mul_i32 s11, s11, s8
	v_mov_b32_e32 v2, s6
	s_add_i32 s11, s2, s11
	s_mul_i32 s10, s10, s8
	v_mad_u64_u32 v[2:3], s[12:13], s7, v2, v[0:1]
	s_mov_b32 s3, 0
	v_cmp_gt_i64_e32 vcc, s[10:11], v[2:3]
	s_and_saveexec_b64 s[12:13], vcc
	s_cbranch_execz .LBB42_64
; %bb.1:
	s_load_dword s2, s[0:1], 0x0
	v_mov_b32_e32 v4, s7
	s_waitcnt lgkmcnt(0)
	s_add_u32 s0, s6, s2
	s_addc_u32 s1, 0, 0
	s_mul_i32 s12, s1, s7
	v_mad_u64_u32 v[10:11], s[0:1], s0, v4, v[0:1]
	v_add_u32_e32 v11, s12, v11
	v_mov_b32_e32 v4, s11
	v_cmp_gt_i64_e32 vcc, s[10:11], v[10:11]
	v_cndmask_b32_e32 v6, v11, v4, vcc
	v_mov_b32_e32 v4, s10
	v_cndmask_b32_e32 v5, v10, v4, vcc
	v_cndmask_b32_e64 v4, 0, 1, vcc
	v_add_co_u32_e32 v7, vcc, v10, v4
	v_addc_co_u32_e32 v8, vcc, 0, v11, vcc
	v_sub_co_u32_e32 v5, vcc, v5, v7
	s_mul_hi_u32 s21, s7, s2
	v_subb_co_u32_e32 v8, vcc, v6, v8, vcc
	v_or_b32_e32 v7, s21, v8
	v_mov_b32_e32 v6, v1
	s_mul_i32 s20, s7, s2
	v_cmp_ne_u64_e32 vcc, 0, v[6:7]
                                        ; implicit-def: $vgpr6_vgpr7
	s_and_saveexec_b64 s[0:1], vcc
	s_xor_b64 s[12:13], exec, s[0:1]
	s_cbranch_execz .LBB42_3
; %bb.2:
	v_cvt_f32_u32_e32 v6, s20
	v_cvt_f32_u32_e32 v7, s21
	s_sub_u32 s0, 0, s20
	s_subb_u32 s1, 0, s21
	v_madmk_f32 v6, v7, 0x4f800000, v6
	v_rcp_f32_e32 v6, v6
	v_mul_f32_e32 v6, 0x5f7ffffc, v6
	v_mul_f32_e32 v7, 0x2f800000, v6
	v_trunc_f32_e32 v7, v7
	v_madmk_f32 v6, v7, 0xcf800000, v6
	v_cvt_u32_f32_e32 v7, v7
	v_cvt_u32_f32_e32 v6, v6
	v_mul_lo_u32 v9, s0, v7
	v_mul_hi_u32 v13, s0, v6
	v_mul_lo_u32 v12, s1, v6
	v_add_u32_e32 v9, v13, v9
	v_mul_lo_u32 v14, s0, v6
	v_add_u32_e32 v9, v9, v12
	v_mul_hi_u32 v13, v6, v14
	v_mul_lo_u32 v15, v6, v9
	v_mul_hi_u32 v12, v6, v9
	v_add_co_u32_e32 v13, vcc, v13, v15
	v_addc_co_u32_e32 v12, vcc, 0, v12, vcc
	v_mul_hi_u32 v16, v7, v14
	v_mul_lo_u32 v14, v7, v14
	v_add_co_u32_e32 v13, vcc, v13, v14
	v_mul_hi_u32 v15, v7, v9
	v_addc_co_u32_e32 v12, vcc, v12, v16, vcc
	v_addc_co_u32_e32 v13, vcc, 0, v15, vcc
	v_mul_lo_u32 v9, v7, v9
	v_add_co_u32_e32 v9, vcc, v12, v9
	v_addc_co_u32_e32 v12, vcc, 0, v13, vcc
	v_add_co_u32_e32 v6, vcc, v6, v9
	v_addc_co_u32_e32 v7, vcc, v7, v12, vcc
	v_mul_lo_u32 v9, s0, v7
	v_mul_hi_u32 v12, s0, v6
	v_add_u32_e32 v9, v12, v9
	v_mul_lo_u32 v12, s1, v6
	v_add_u32_e32 v9, v9, v12
	v_mul_lo_u32 v13, s0, v6
	v_mul_hi_u32 v14, v7, v13
	v_mul_lo_u32 v15, v7, v13
	v_mul_lo_u32 v17, v6, v9
	v_mul_hi_u32 v13, v6, v13
	v_mul_hi_u32 v16, v6, v9
	v_add_co_u32_e32 v13, vcc, v13, v17
	v_addc_co_u32_e32 v16, vcc, 0, v16, vcc
	v_add_co_u32_e32 v13, vcc, v13, v15
	v_mul_hi_u32 v12, v7, v9
	v_addc_co_u32_e32 v13, vcc, v16, v14, vcc
	v_addc_co_u32_e32 v12, vcc, 0, v12, vcc
	v_mul_lo_u32 v9, v7, v9
	v_add_co_u32_e32 v9, vcc, v13, v9
	v_addc_co_u32_e32 v12, vcc, 0, v12, vcc
	v_add_co_u32_e32 v9, vcc, v6, v9
	v_addc_co_u32_e32 v12, vcc, v7, v12, vcc
	v_mad_u64_u32 v[6:7], s[0:1], v5, v12, 0
	v_mul_hi_u32 v13, v5, v9
	v_add_co_u32_e32 v14, vcc, v13, v6
	v_addc_co_u32_e32 v15, vcc, 0, v7, vcc
	v_mad_u64_u32 v[6:7], s[0:1], v8, v12, 0
	v_mad_u64_u32 v[12:13], s[0:1], v8, v9, 0
	v_add_co_u32_e32 v9, vcc, v14, v12
	v_addc_co_u32_e32 v9, vcc, v15, v13, vcc
	v_addc_co_u32_e32 v7, vcc, 0, v7, vcc
	v_add_co_u32_e32 v9, vcc, v9, v6
	v_addc_co_u32_e32 v12, vcc, 0, v7, vcc
	v_mul_lo_u32 v13, s21, v9
	v_mul_lo_u32 v14, s20, v12
	v_mad_u64_u32 v[6:7], s[0:1], s20, v9, 0
	v_add3_u32 v7, v7, v14, v13
	v_sub_u32_e32 v13, v8, v7
	v_mov_b32_e32 v14, s21
	v_sub_co_u32_e32 v5, vcc, v5, v6
	v_subb_co_u32_e64 v6, s[0:1], v13, v14, vcc
	v_subrev_co_u32_e64 v13, s[0:1], s20, v5
	v_subbrev_co_u32_e64 v6, s[0:1], 0, v6, s[0:1]
	v_cmp_le_u32_e64 s[0:1], s21, v6
	v_cndmask_b32_e64 v14, 0, -1, s[0:1]
	v_cmp_le_u32_e64 s[0:1], s20, v13
	v_cndmask_b32_e64 v13, 0, -1, s[0:1]
	v_cmp_eq_u32_e64 s[0:1], s21, v6
	v_cndmask_b32_e64 v6, v14, v13, s[0:1]
	v_add_co_u32_e64 v13, s[0:1], 2, v9
	v_subb_co_u32_e32 v7, vcc, v8, v7, vcc
	v_addc_co_u32_e64 v14, s[0:1], 0, v12, s[0:1]
	v_cmp_le_u32_e32 vcc, s21, v7
	v_add_co_u32_e64 v15, s[0:1], 1, v9
	v_cndmask_b32_e64 v8, 0, -1, vcc
	v_cmp_le_u32_e32 vcc, s20, v5
	v_addc_co_u32_e64 v16, s[0:1], 0, v12, s[0:1]
	v_cndmask_b32_e64 v5, 0, -1, vcc
	v_cmp_eq_u32_e32 vcc, s21, v7
	v_cmp_ne_u32_e64 s[0:1], 0, v6
	v_cndmask_b32_e32 v5, v8, v5, vcc
	v_cndmask_b32_e64 v6, v16, v14, s[0:1]
	v_cmp_ne_u32_e32 vcc, 0, v5
	v_cndmask_b32_e64 v5, v15, v13, s[0:1]
	v_cndmask_b32_e32 v7, v12, v6, vcc
	v_cndmask_b32_e32 v6, v9, v5, vcc
                                        ; implicit-def: $vgpr5
.LBB42_3:
	s_or_saveexec_b64 s[0:1], s[12:13]
	s_load_dwordx4 s[12:15], s[4:5], 0x0
	s_xor_b64 exec, exec, s[0:1]
	s_cbranch_execz .LBB42_5
; %bb.4:
	v_cvt_f32_u32_e32 v6, s20
	s_sub_i32 s16, 0, s20
	v_rcp_iflag_f32_e32 v6, v6
	v_mul_f32_e32 v6, 0x4f7ffffe, v6
	v_cvt_u32_f32_e32 v6, v6
	v_mul_lo_u32 v7, s16, v6
	v_mul_hi_u32 v7, v6, v7
	v_add_u32_e32 v6, v6, v7
	v_mul_hi_u32 v6, v5, v6
	v_mul_lo_u32 v7, v6, s20
	v_sub_u32_e32 v5, v5, v7
	v_add_u32_e32 v8, 1, v6
	v_subrev_u32_e32 v7, s20, v5
	v_cmp_le_u32_e32 vcc, s20, v5
	v_cndmask_b32_e32 v5, v5, v7, vcc
	v_cndmask_b32_e32 v6, v6, v8, vcc
	v_add_u32_e32 v7, 1, v6
	v_cmp_le_u32_e32 vcc, s20, v5
	v_cndmask_b32_e32 v6, v6, v7, vcc
	v_mov_b32_e32 v7, 0
.LBB42_5:
	s_or_b64 exec, exec, s[0:1]
	s_load_dwordx4 s[16:19], s[4:5], 0x10
	v_add_co_u32_e32 v4, vcc, v6, v4
	v_addc_co_u32_e32 v5, vcc, 0, v7, vcc
	s_waitcnt lgkmcnt(0)
	s_lshl_b64 s[4:5], s[16:17], 1
	s_add_u32 s22, s4, -2
	v_add_co_u32_e32 v20, vcc, 1, v4
	s_addc_u32 s23, s5, -1
	v_addc_co_u32_e32 v21, vcc, 0, v5, vcc
	s_mov_b64 s[0:1], 0
	v_cmp_lt_i64_e64 s[28:29], s[22:23], 1
	v_cmp_gt_i64_e64 s[24:25], s[22:23], 0
	v_cmp_lt_u64_e32 vcc, 3, v[20:21]
                                        ; kill: def $vgpr4_vgpr5 killed $sgpr0_sgpr1 killed $exec
                                        ; implicit-def: $sgpr30_sgpr31
                                        ; implicit-def: $sgpr36_sgpr37
	s_and_saveexec_b64 s[4:5], vcc
	s_xor_b64 s[26:27], exec, s[4:5]
	s_cbranch_execz .LBB42_49
; %bb.6:
	v_mad_u64_u32 v[8:9], s[0:1], s20, 3, v[2:3]
	v_mov_b32_e32 v12, v9
	v_mad_u64_u32 v[6:7], s[0:1], s20, 2, v[2:3]
	v_mad_u64_u32 v[4:5], s[0:1], s20, 1, v[2:3]
	;; [unrolled: 1-line block ×3, first 2 shown]
	s_lshl_b64 s[34:35], s[20:21], 2
	s_xor_b64 s[48:49], s[28:29], -1
	v_mov_b32_e32 v9, v12
	s_sub_u32 s30, 0, s8
	v_mov_b32_e32 v12, s19
	v_subrev_co_u32_e32 v24, vcc, s18, v2
	s_mul_i32 s0, s21, 6
	s_mul_hi_u32 s1, s20, 6
	s_subb_u32 s31, 0, s9
	v_subb_co_u32_e32 v25, vcc, v3, v12, vcc
	s_add_i32 s65, s1, s0
	v_lshlrev_b64 v[12:13], 1, v[2:3]
	s_lshl_b64 s[50:51], s[20:21], 3
	s_lshl_b64 s[36:37], s[20:21], 1
	;; [unrolled: 1-line block ×3, first 2 shown]
	v_mov_b32_e32 v14, s15
	v_add_co_u32_e32 v26, vcc, s14, v12
	s_add_u32 s0, s0, s6
	v_addc_co_u32_e32 v27, vcc, v14, v13, vcc
	s_addc_u32 s1, s1, 0
	v_mov_b32_e32 v14, s7
	s_mul_i32 s3, s1, s7
	v_mad_u64_u32 v[12:13], s[0:1], s0, v14, v[0:1]
	s_mul_i32 s1, s2, 3
	s_mul_hi_u32 s0, s2, 3
	s_add_u32 s1, s1, s6
	v_add_u32_e32 v13, s3, v13
	v_mov_b32_e32 v15, s19
	v_subrev_co_u32_e32 v28, vcc, s18, v12
	s_addc_u32 s0, s0, 0
	v_subb_co_u32_e32 v29, vcc, v13, v15, vcc
	s_mul_i32 s2, s0, s7
	v_mad_u64_u32 v[0:1], s[0:1], s1, v14, v[0:1]
	v_add_u32_e32 v1, s2, v1
	v_mov_b32_e32 v12, s19
	v_subrev_co_u32_e32 v0, vcc, s18, v0
	v_subb_co_u32_e32 v1, vcc, v1, v12, vcc
	v_lshl_add_u32 v7, s21, 1, v7
	v_add_u32_e32 v5, s21, v5
	v_subrev_co_u32_e32 v30, vcc, s18, v10
	v_and_b32_e32 v22, -4, v20
	v_mov_b32_e32 v23, v21
	v_subb_co_u32_e32 v31, vcc, v11, v12, vcc
	v_pk_mov_b32 v[10:11], v[8:9], v[8:9] op_sel:[0,1]
	s_mov_b32 s33, s34
	s_mov_b32 s54, s35
	;; [unrolled: 1-line block ×20, first 2 shown]
	s_mov_b64 s[46:47], 0
	s_mul_i32 s66, s20, 6
	v_mov_b32_e32 v32, 0
	v_pk_mov_b32 v[34:35], v[22:23], v[22:23] op_sel:[0,1]
	v_pk_mov_b32 v[8:9], v[6:7], v[6:7] op_sel:[0,1]
	;; [unrolled: 1-line block ×4, first 2 shown]
	s_branch .LBB42_9
.LBB42_7:                               ;   in Loop: Header=BB42_9 Depth=1
	s_or_b64 exec, exec, s[0:1]
.LBB42_8:                               ;   in Loop: Header=BB42_9 Depth=1
	v_ashrrev_i32_e32 v49, 31, v13
	v_and_b32_e32 v50, s23, v49
	v_and_b32_e32 v49, s22, v49
	v_ashrrev_i32_e32 v47, 31, v15
	v_add_co_u32_e32 v12, vcc, v49, v12
	v_and_b32_e32 v48, s60, v47
	v_and_b32_e32 v47, s59, v47
	v_addc_co_u32_e32 v13, vcc, v50, v13, vcc
	v_ashrrev_i32_e32 v45, 31, v17
	v_add_co_u32_e32 v14, vcc, v47, v14
	v_and_b32_e32 v46, s62, v45
	v_and_b32_e32 v45, s61, v45
	v_addc_co_u32_e32 v15, vcc, v48, v15, vcc
	;; [unrolled: 5-line block ×3, first 2 shown]
	v_add_co_u32_e32 v18, vcc, v33, v18
	v_addc_co_u32_e32 v19, vcc, v44, v19, vcc
	v_mov_b32_e32 v33, s64
	v_sub_co_u32_e32 v44, vcc, s63, v18
	v_subb_co_u32_e32 v33, vcc, v33, v19, vcc
	v_mov_b32_e32 v45, s62
	v_sub_co_u32_e32 v46, vcc, s61, v16
	v_subb_co_u32_e32 v45, vcc, v45, v17, vcc
	;; [unrolled: 3-line block ×4, first 2 shown]
	v_cmp_gt_i64_e32 vcc, s[38:39], v[12:13]
	v_cndmask_b32_e32 v50, v50, v12, vcc
	v_cndmask_b32_e32 v49, v49, v13, vcc
	v_cmp_gt_i64_e32 vcc, s[40:41], v[14:15]
	v_cndmask_b32_e32 v48, v48, v14, vcc
	v_cndmask_b32_e32 v47, v47, v15, vcc
	;; [unrolled: 3-line block ×4, first 2 shown]
	v_mul_lo_u32 v33, v43, s44
	v_mul_lo_u32 v44, v42, s45
	v_mad_u64_u32 v[42:43], s[0:1], v42, s44, 0
	v_add3_u32 v43, v43, v44, v33
	v_mul_lo_u32 v33, v41, s42
	v_mul_lo_u32 v44, v40, s43
	v_mad_u64_u32 v[40:41], s[0:1], v40, s42, 0
	v_add3_u32 v41, v41, v44, v33
	v_mul_lo_u32 v33, v39, s40
	v_mul_lo_u32 v44, v38, s41
	v_mad_u64_u32 v[38:39], s[0:1], v38, s40, 0
	v_add3_u32 v39, v39, v44, v33
	v_mul_lo_u32 v33, v37, s38
	v_mul_lo_u32 v44, v36, s39
	v_mad_u64_u32 v[36:37], s[0:1], v36, s38, 0
	v_add3_u32 v37, v37, v44, v33
	v_lshlrev_b64 v[36:37], 1, v[36:37]
	v_mov_b32_e32 v33, s13
	v_add_co_u32_e32 v44, vcc, s12, v36
	v_addc_co_u32_e32 v45, vcc, v33, v37, vcc
	v_lshlrev_b64 v[36:37], 1, v[38:39]
	v_add_co_u32_e32 v38, vcc, s12, v36
	v_addc_co_u32_e32 v39, vcc, v33, v37, vcc
	v_lshlrev_b64 v[36:37], 1, v[40:41]
	;; [unrolled: 3-line block ×3, first 2 shown]
	v_cndmask_b32_e64 v19, v49, 0, s[28:29]
	v_cndmask_b32_e64 v18, v50, 0, s[28:29]
	v_add_co_u32_e32 v36, vcc, s12, v36
	v_addc_co_u32_e32 v33, vcc, v33, v37, vcc
	v_lshlrev_b64 v[18:19], 1, v[18:19]
	v_cndmask_b32_e64 v17, v47, 0, s[28:29]
	v_cndmask_b32_e64 v16, v48, 0, s[28:29]
	v_add_co_u32_e32 v18, vcc, v44, v18
	v_addc_co_u32_e32 v19, vcc, v45, v19, vcc
	v_lshlrev_b64 v[16:17], 1, v[16:17]
	;; [unrolled: 5-line block ×4, first 2 shown]
	v_add_co_u32_e32 v12, vcc, v36, v12
	v_addc_co_u32_e32 v13, vcc, v33, v13, vcc
	global_load_ushort v18, v[18:19], off
	s_nop 0
	global_load_ushort v19, v[16:17], off
	global_load_ushort v33, v[14:15], off
	;; [unrolled: 1-line block ×3, first 2 shown]
	v_mov_b32_e32 v13, s37
	v_add_co_u32_e32 v12, vcc, s36, v26
	v_addc_co_u32_e32 v13, vcc, v27, v13, vcc
	v_mov_b32_e32 v37, s35
	v_add_co_u32_e32 v14, vcc, s34, v26
	v_addc_co_u32_e32 v15, vcc, v27, v37, vcc
	;; [unrolled: 3-line block ×3, first 2 shown]
	s_waitcnt vmcnt(3)
	global_store_short v[26:27], v18, off
	s_waitcnt vmcnt(3)
	global_store_short v[12:13], v19, off
	s_waitcnt vmcnt(3)
	global_store_short v[14:15], v33, off
	s_waitcnt vmcnt(3)
	global_store_short v[16:17], v36, off
	v_mov_b32_e32 v12, s58
	v_add_co_u32_e32 v10, vcc, s57, v10
	v_addc_co_u32_e32 v11, vcc, v11, v12, vcc
	v_mov_b32_e32 v12, s56
	v_add_co_u32_e32 v8, vcc, s55, v8
	v_addc_co_u32_e32 v9, vcc, v9, v12, vcc
	;; [unrolled: 3-line block ×4, first 2 shown]
	v_add_co_u32_e32 v34, vcc, -4, v34
	v_addc_co_u32_e32 v35, vcc, -1, v35, vcc
	v_add_co_u32_e32 v24, vcc, s34, v24
	v_addc_co_u32_e32 v25, vcc, v25, v37, vcc
	v_mov_b32_e32 v12, s51
	v_add_co_u32_e32 v26, vcc, s50, v26
	v_addc_co_u32_e32 v27, vcc, v27, v12, vcc
	v_add_co_u32_e32 v28, vcc, s34, v28
	v_addc_co_u32_e32 v29, vcc, v29, v37, vcc
	;; [unrolled: 2-line block ×3, first 2 shown]
	v_cmp_eq_u64_e32 vcc, 0, v[34:35]
	s_or_b64 s[46:47], vcc, s[46:47]
	v_add_co_u32_e32 v30, vcc, s34, v30
	v_addc_co_u32_e32 v31, vcc, v31, v37, vcc
	s_andn2_b64 exec, exec, s[46:47]
	s_cbranch_execz .LBB42_48
.LBB42_9:                               ; =>This Inner Loop Header: Depth=1
	v_or_b32_e32 v33, s9, v5
	v_cmp_ne_u64_e32 vcc, 0, v[32:33]
                                        ; implicit-def: $vgpr36_vgpr37
	s_and_saveexec_b64 s[0:1], vcc
	s_xor_b64 s[2:3], exec, s[0:1]
	s_cbranch_execz .LBB42_11
; %bb.10:                               ;   in Loop: Header=BB42_9 Depth=1
	s_ashr_i32 s4, s9, 31
	s_add_u32 s0, s8, s4
	s_mov_b32 s5, s4
	s_addc_u32 s1, s9, s4
	s_xor_b64 s[6:7], s[0:1], s[4:5]
	v_cvt_f32_u32_e32 v12, s6
	v_cvt_f32_u32_e32 v13, s7
	s_sub_u32 s0, 0, s6
	s_subb_u32 s1, 0, s7
	v_mac_f32_e32 v12, 0x4f800000, v13
	v_rcp_f32_e32 v12, v12
	v_mul_f32_e32 v12, 0x5f7ffffc, v12
	v_mul_f32_e32 v13, 0x2f800000, v12
	v_trunc_f32_e32 v13, v13
	v_mac_f32_e32 v12, 0xcf800000, v13
	v_cvt_u32_f32_e32 v13, v13
	v_cvt_u32_f32_e32 v12, v12
	v_mul_lo_u32 v14, s0, v13
	v_mul_hi_u32 v16, s0, v12
	v_mul_lo_u32 v15, s1, v12
	v_add_u32_e32 v14, v16, v14
	v_mul_lo_u32 v17, s0, v12
	v_add_u32_e32 v14, v14, v15
	v_mul_lo_u32 v16, v12, v14
	v_mul_hi_u32 v18, v12, v17
	v_mul_hi_u32 v15, v12, v14
	v_add_co_u32_e32 v16, vcc, v18, v16
	v_addc_co_u32_e32 v15, vcc, 0, v15, vcc
	v_mul_hi_u32 v19, v13, v17
	v_mul_lo_u32 v17, v13, v17
	v_add_co_u32_e32 v16, vcc, v16, v17
	v_mul_hi_u32 v18, v13, v14
	v_addc_co_u32_e32 v15, vcc, v15, v19, vcc
	v_addc_co_u32_e32 v16, vcc, 0, v18, vcc
	v_mul_lo_u32 v14, v13, v14
	v_add_co_u32_e32 v14, vcc, v15, v14
	v_addc_co_u32_e32 v15, vcc, 0, v16, vcc
	v_add_co_u32_e32 v12, vcc, v12, v14
	v_addc_co_u32_e32 v13, vcc, v13, v15, vcc
	v_mul_lo_u32 v14, s0, v13
	v_mul_hi_u32 v15, s0, v12
	v_add_u32_e32 v14, v15, v14
	v_mul_lo_u32 v15, s1, v12
	v_add_u32_e32 v14, v14, v15
	v_mul_lo_u32 v16, s0, v12
	v_mul_hi_u32 v17, v13, v16
	v_mul_lo_u32 v18, v13, v16
	v_mul_lo_u32 v33, v12, v14
	v_mul_hi_u32 v16, v12, v16
	v_mul_hi_u32 v19, v12, v14
	v_add_co_u32_e32 v16, vcc, v16, v33
	v_addc_co_u32_e32 v19, vcc, 0, v19, vcc
	v_add_co_u32_e32 v16, vcc, v16, v18
	v_mul_hi_u32 v15, v13, v14
	v_addc_co_u32_e32 v16, vcc, v19, v17, vcc
	v_addc_co_u32_e32 v15, vcc, 0, v15, vcc
	v_mul_lo_u32 v14, v13, v14
	v_add_co_u32_e32 v14, vcc, v16, v14
	v_addc_co_u32_e32 v15, vcc, 0, v15, vcc
	v_add_co_u32_e32 v14, vcc, v12, v14
	v_addc_co_u32_e32 v15, vcc, v13, v15, vcc
	v_ashrrev_i32_e32 v16, 31, v5
	v_add_co_u32_e32 v12, vcc, v4, v16
	v_addc_co_u32_e32 v13, vcc, v5, v16, vcc
	v_xor_b32_e32 v18, v12, v16
	v_xor_b32_e32 v17, v13, v16
	v_mad_u64_u32 v[12:13], s[0:1], v18, v15, 0
	v_mul_hi_u32 v19, v18, v14
	v_add_co_u32_e32 v19, vcc, v19, v12
	v_addc_co_u32_e32 v33, vcc, 0, v13, vcc
	v_mad_u64_u32 v[12:13], s[0:1], v17, v15, 0
	v_mad_u64_u32 v[14:15], s[0:1], v17, v14, 0
	v_add_co_u32_e32 v14, vcc, v19, v14
	v_addc_co_u32_e32 v14, vcc, v33, v15, vcc
	v_addc_co_u32_e32 v13, vcc, 0, v13, vcc
	v_add_co_u32_e32 v14, vcc, v14, v12
	v_addc_co_u32_e32 v15, vcc, 0, v13, vcc
	v_mul_lo_u32 v19, s7, v14
	v_mul_lo_u32 v33, s6, v15
	v_mad_u64_u32 v[12:13], s[0:1], s6, v14, 0
	v_add3_u32 v13, v13, v33, v19
	v_sub_u32_e32 v19, v17, v13
	v_mov_b32_e32 v33, s7
	v_sub_co_u32_e32 v12, vcc, v18, v12
	v_subb_co_u32_e64 v18, s[0:1], v19, v33, vcc
	v_subrev_co_u32_e64 v19, s[0:1], s6, v12
	v_subbrev_co_u32_e64 v18, s[0:1], 0, v18, s[0:1]
	v_cmp_le_u32_e64 s[0:1], s7, v18
	v_cndmask_b32_e64 v33, 0, -1, s[0:1]
	v_cmp_le_u32_e64 s[0:1], s6, v19
	v_cndmask_b32_e64 v19, 0, -1, s[0:1]
	v_cmp_eq_u32_e64 s[0:1], s7, v18
	v_cndmask_b32_e64 v18, v33, v19, s[0:1]
	v_add_co_u32_e64 v19, s[0:1], 2, v14
	v_subb_co_u32_e32 v13, vcc, v17, v13, vcc
	v_addc_co_u32_e64 v33, s[0:1], 0, v15, s[0:1]
	v_cmp_le_u32_e32 vcc, s7, v13
	v_add_co_u32_e64 v36, s[0:1], 1, v14
	v_cndmask_b32_e64 v17, 0, -1, vcc
	v_cmp_le_u32_e32 vcc, s6, v12
	v_addc_co_u32_e64 v37, s[0:1], 0, v15, s[0:1]
	v_cndmask_b32_e64 v12, 0, -1, vcc
	v_cmp_eq_u32_e32 vcc, s7, v13
	v_cmp_ne_u32_e64 s[0:1], 0, v18
	v_cndmask_b32_e32 v12, v17, v12, vcc
	v_cmp_ne_u32_e32 vcc, 0, v12
	v_cndmask_b32_e64 v13, v36, v19, s[0:1]
	v_cndmask_b32_e64 v18, v37, v33, s[0:1]
	v_cndmask_b32_e32 v13, v14, v13, vcc
	v_xor_b32_e32 v14, s4, v16
	v_cndmask_b32_e32 v12, v15, v18, vcc
	v_xor_b32_e32 v13, v13, v14
	v_xor_b32_e32 v12, v12, v14
	v_sub_co_u32_e32 v36, vcc, v13, v14
	v_subb_co_u32_e32 v37, vcc, v12, v14, vcc
.LBB42_11:                              ;   in Loop: Header=BB42_9 Depth=1
	s_or_saveexec_b64 s[0:1], s[2:3]
	v_cvt_f32_u32_e32 v12, s8
	v_rcp_iflag_f32_e32 v12, v12
	s_xor_b64 exec, exec, s[0:1]
	s_cbranch_execz .LBB42_13
; %bb.12:                               ;   in Loop: Header=BB42_9 Depth=1
	v_mul_f32_e32 v13, 0x4f7ffffe, v12
	v_cvt_u32_f32_e32 v13, v13
	s_sub_i32 s2, 0, s8
	v_mov_b32_e32 v37, v32
	v_mul_lo_u32 v14, s2, v13
	v_mul_hi_u32 v14, v13, v14
	v_add_u32_e32 v13, v13, v14
	v_mul_hi_u32 v13, v4, v13
	v_mul_lo_u32 v14, v13, s8
	v_sub_u32_e32 v14, v4, v14
	v_add_u32_e32 v15, 1, v13
	v_subrev_u32_e32 v16, s8, v14
	v_cmp_le_u32_e32 vcc, s8, v14
	v_cndmask_b32_e32 v14, v14, v16, vcc
	v_cndmask_b32_e32 v13, v13, v15, vcc
	v_add_u32_e32 v15, 1, v13
	v_cmp_le_u32_e32 vcc, s8, v14
	v_cndmask_b32_e32 v36, v13, v15, vcc
.LBB42_13:                              ;   in Loop: Header=BB42_9 Depth=1
	s_or_b64 exec, exec, s[0:1]
	v_or_b32_e32 v33, s9, v7
	v_cmp_ne_u64_e32 vcc, 0, v[32:33]
                                        ; implicit-def: $vgpr38_vgpr39
	s_and_saveexec_b64 s[0:1], vcc
	s_xor_b64 s[2:3], exec, s[0:1]
	s_cbranch_execz .LBB42_15
; %bb.14:                               ;   in Loop: Header=BB42_9 Depth=1
	s_ashr_i32 s4, s9, 31
	s_add_u32 s0, s8, s4
	s_mov_b32 s5, s4
	s_addc_u32 s1, s9, s4
	s_xor_b64 s[6:7], s[0:1], s[4:5]
	v_cvt_f32_u32_e32 v13, s6
	v_cvt_f32_u32_e32 v14, s7
	s_sub_u32 s0, 0, s6
	s_subb_u32 s1, 0, s7
	v_mac_f32_e32 v13, 0x4f800000, v14
	v_rcp_f32_e32 v13, v13
	v_mul_f32_e32 v13, 0x5f7ffffc, v13
	v_mul_f32_e32 v14, 0x2f800000, v13
	v_trunc_f32_e32 v14, v14
	v_mac_f32_e32 v13, 0xcf800000, v14
	v_cvt_u32_f32_e32 v14, v14
	v_cvt_u32_f32_e32 v13, v13
	v_mul_lo_u32 v15, s0, v14
	v_mul_hi_u32 v17, s0, v13
	v_mul_lo_u32 v16, s1, v13
	v_add_u32_e32 v15, v17, v15
	v_mul_lo_u32 v18, s0, v13
	v_add_u32_e32 v15, v15, v16
	v_mul_lo_u32 v17, v13, v15
	v_mul_hi_u32 v19, v13, v18
	v_mul_hi_u32 v16, v13, v15
	v_add_co_u32_e32 v17, vcc, v19, v17
	v_addc_co_u32_e32 v16, vcc, 0, v16, vcc
	v_mul_hi_u32 v33, v14, v18
	v_mul_lo_u32 v18, v14, v18
	v_add_co_u32_e32 v17, vcc, v17, v18
	v_mul_hi_u32 v19, v14, v15
	v_addc_co_u32_e32 v16, vcc, v16, v33, vcc
	v_addc_co_u32_e32 v17, vcc, 0, v19, vcc
	v_mul_lo_u32 v15, v14, v15
	v_add_co_u32_e32 v15, vcc, v16, v15
	v_addc_co_u32_e32 v16, vcc, 0, v17, vcc
	v_add_co_u32_e32 v13, vcc, v13, v15
	v_addc_co_u32_e32 v14, vcc, v14, v16, vcc
	v_mul_lo_u32 v15, s0, v14
	v_mul_hi_u32 v16, s0, v13
	v_add_u32_e32 v15, v16, v15
	v_mul_lo_u32 v16, s1, v13
	v_add_u32_e32 v15, v15, v16
	v_mul_lo_u32 v17, s0, v13
	v_mul_hi_u32 v18, v14, v17
	v_mul_lo_u32 v19, v14, v17
	v_mul_lo_u32 v38, v13, v15
	v_mul_hi_u32 v17, v13, v17
	v_mul_hi_u32 v33, v13, v15
	v_add_co_u32_e32 v17, vcc, v17, v38
	v_addc_co_u32_e32 v33, vcc, 0, v33, vcc
	v_add_co_u32_e32 v17, vcc, v17, v19
	v_mul_hi_u32 v16, v14, v15
	v_addc_co_u32_e32 v17, vcc, v33, v18, vcc
	v_addc_co_u32_e32 v16, vcc, 0, v16, vcc
	v_mul_lo_u32 v15, v14, v15
	v_add_co_u32_e32 v15, vcc, v17, v15
	v_addc_co_u32_e32 v16, vcc, 0, v16, vcc
	v_add_co_u32_e32 v13, vcc, v13, v15
	v_addc_co_u32_e32 v16, vcc, v14, v16, vcc
	v_ashrrev_i32_e32 v18, 31, v7
	v_add_co_u32_e32 v14, vcc, v6, v18
	v_addc_co_u32_e32 v15, vcc, v7, v18, vcc
	v_xor_b32_e32 v33, v14, v18
	v_xor_b32_e32 v19, v15, v18
	v_mad_u64_u32 v[14:15], s[0:1], v33, v16, 0
	v_mul_hi_u32 v17, v33, v13
	v_add_co_u32_e32 v38, vcc, v17, v14
	v_addc_co_u32_e32 v39, vcc, 0, v15, vcc
	v_mad_u64_u32 v[14:15], s[0:1], v19, v16, 0
	v_mad_u64_u32 v[16:17], s[0:1], v19, v13, 0
	v_add_co_u32_e32 v13, vcc, v38, v16
	v_addc_co_u32_e32 v13, vcc, v39, v17, vcc
	v_addc_co_u32_e32 v15, vcc, 0, v15, vcc
	v_add_co_u32_e32 v13, vcc, v13, v14
	v_addc_co_u32_e32 v16, vcc, 0, v15, vcc
	v_mul_lo_u32 v17, s7, v13
	v_mul_lo_u32 v38, s6, v16
	v_mad_u64_u32 v[14:15], s[0:1], s6, v13, 0
	v_add3_u32 v15, v15, v38, v17
	v_sub_u32_e32 v17, v19, v15
	v_mov_b32_e32 v38, s7
	v_sub_co_u32_e32 v14, vcc, v33, v14
	v_subb_co_u32_e64 v17, s[0:1], v17, v38, vcc
	v_subrev_co_u32_e64 v33, s[0:1], s6, v14
	v_subbrev_co_u32_e64 v17, s[0:1], 0, v17, s[0:1]
	v_cmp_le_u32_e64 s[0:1], s7, v17
	v_cndmask_b32_e64 v38, 0, -1, s[0:1]
	v_cmp_le_u32_e64 s[0:1], s6, v33
	v_cndmask_b32_e64 v33, 0, -1, s[0:1]
	v_cmp_eq_u32_e64 s[0:1], s7, v17
	v_cndmask_b32_e64 v17, v38, v33, s[0:1]
	v_add_co_u32_e64 v33, s[0:1], 2, v13
	v_subb_co_u32_e32 v15, vcc, v19, v15, vcc
	v_addc_co_u32_e64 v38, s[0:1], 0, v16, s[0:1]
	v_cmp_le_u32_e32 vcc, s7, v15
	v_add_co_u32_e64 v39, s[0:1], 1, v13
	v_cndmask_b32_e64 v19, 0, -1, vcc
	v_cmp_le_u32_e32 vcc, s6, v14
	v_addc_co_u32_e64 v40, s[0:1], 0, v16, s[0:1]
	v_cndmask_b32_e64 v14, 0, -1, vcc
	v_cmp_eq_u32_e32 vcc, s7, v15
	v_cmp_ne_u32_e64 s[0:1], 0, v17
	v_cndmask_b32_e32 v14, v19, v14, vcc
	v_cmp_ne_u32_e32 vcc, 0, v14
	v_cndmask_b32_e64 v15, v39, v33, s[0:1]
	v_cndmask_b32_e64 v17, v40, v38, s[0:1]
	v_cndmask_b32_e32 v13, v13, v15, vcc
	v_xor_b32_e32 v15, s4, v18
	v_cndmask_b32_e32 v14, v16, v17, vcc
	v_xor_b32_e32 v13, v13, v15
	v_xor_b32_e32 v14, v14, v15
	v_sub_co_u32_e32 v38, vcc, v13, v15
	v_subb_co_u32_e32 v39, vcc, v14, v15, vcc
.LBB42_15:                              ;   in Loop: Header=BB42_9 Depth=1
	s_andn2_saveexec_b64 s[0:1], s[2:3]
	s_cbranch_execz .LBB42_17
; %bb.16:                               ;   in Loop: Header=BB42_9 Depth=1
	v_mul_f32_e32 v13, 0x4f7ffffe, v12
	v_cvt_u32_f32_e32 v13, v13
	s_sub_i32 s2, 0, s8
	v_mov_b32_e32 v39, v32
	v_mul_lo_u32 v14, s2, v13
	v_mul_hi_u32 v14, v13, v14
	v_add_u32_e32 v13, v13, v14
	v_mul_hi_u32 v13, v6, v13
	v_mul_lo_u32 v14, v13, s8
	v_sub_u32_e32 v14, v6, v14
	v_add_u32_e32 v15, 1, v13
	v_subrev_u32_e32 v16, s8, v14
	v_cmp_le_u32_e32 vcc, s8, v14
	v_cndmask_b32_e32 v14, v14, v16, vcc
	v_cndmask_b32_e32 v13, v13, v15, vcc
	v_add_u32_e32 v15, 1, v13
	v_cmp_le_u32_e32 vcc, s8, v14
	v_cndmask_b32_e32 v38, v13, v15, vcc
.LBB42_17:                              ;   in Loop: Header=BB42_9 Depth=1
	s_or_b64 exec, exec, s[0:1]
	v_or_b32_e32 v33, s9, v9
	v_cmp_ne_u64_e32 vcc, 0, v[32:33]
                                        ; implicit-def: $vgpr40_vgpr41
	s_and_saveexec_b64 s[0:1], vcc
	s_xor_b64 s[2:3], exec, s[0:1]
	s_cbranch_execz .LBB42_19
; %bb.18:                               ;   in Loop: Header=BB42_9 Depth=1
	s_ashr_i32 s4, s9, 31
	s_add_u32 s0, s8, s4
	s_mov_b32 s5, s4
	s_addc_u32 s1, s9, s4
	s_xor_b64 s[6:7], s[0:1], s[4:5]
	v_cvt_f32_u32_e32 v13, s6
	v_cvt_f32_u32_e32 v14, s7
	s_sub_u32 s0, 0, s6
	s_subb_u32 s1, 0, s7
	v_mac_f32_e32 v13, 0x4f800000, v14
	v_rcp_f32_e32 v13, v13
	v_mul_f32_e32 v13, 0x5f7ffffc, v13
	v_mul_f32_e32 v14, 0x2f800000, v13
	v_trunc_f32_e32 v14, v14
	v_mac_f32_e32 v13, 0xcf800000, v14
	v_cvt_u32_f32_e32 v14, v14
	v_cvt_u32_f32_e32 v13, v13
	v_mul_lo_u32 v15, s0, v14
	v_mul_hi_u32 v17, s0, v13
	v_mul_lo_u32 v16, s1, v13
	v_add_u32_e32 v15, v17, v15
	v_mul_lo_u32 v18, s0, v13
	v_add_u32_e32 v15, v15, v16
	v_mul_lo_u32 v17, v13, v15
	v_mul_hi_u32 v19, v13, v18
	v_mul_hi_u32 v16, v13, v15
	v_add_co_u32_e32 v17, vcc, v19, v17
	v_addc_co_u32_e32 v16, vcc, 0, v16, vcc
	v_mul_hi_u32 v33, v14, v18
	v_mul_lo_u32 v18, v14, v18
	v_add_co_u32_e32 v17, vcc, v17, v18
	v_mul_hi_u32 v19, v14, v15
	v_addc_co_u32_e32 v16, vcc, v16, v33, vcc
	v_addc_co_u32_e32 v17, vcc, 0, v19, vcc
	v_mul_lo_u32 v15, v14, v15
	v_add_co_u32_e32 v15, vcc, v16, v15
	v_addc_co_u32_e32 v16, vcc, 0, v17, vcc
	v_add_co_u32_e32 v13, vcc, v13, v15
	v_addc_co_u32_e32 v14, vcc, v14, v16, vcc
	v_mul_lo_u32 v15, s0, v14
	v_mul_hi_u32 v16, s0, v13
	v_add_u32_e32 v15, v16, v15
	v_mul_lo_u32 v16, s1, v13
	v_add_u32_e32 v15, v15, v16
	v_mul_lo_u32 v17, s0, v13
	v_mul_hi_u32 v18, v14, v17
	v_mul_lo_u32 v19, v14, v17
	v_mul_lo_u32 v40, v13, v15
	v_mul_hi_u32 v17, v13, v17
	v_mul_hi_u32 v33, v13, v15
	v_add_co_u32_e32 v17, vcc, v17, v40
	v_addc_co_u32_e32 v33, vcc, 0, v33, vcc
	v_add_co_u32_e32 v17, vcc, v17, v19
	v_mul_hi_u32 v16, v14, v15
	v_addc_co_u32_e32 v17, vcc, v33, v18, vcc
	v_addc_co_u32_e32 v16, vcc, 0, v16, vcc
	v_mul_lo_u32 v15, v14, v15
	v_add_co_u32_e32 v15, vcc, v17, v15
	v_addc_co_u32_e32 v16, vcc, 0, v16, vcc
	v_add_co_u32_e32 v13, vcc, v13, v15
	v_addc_co_u32_e32 v16, vcc, v14, v16, vcc
	v_ashrrev_i32_e32 v18, 31, v9
	v_add_co_u32_e32 v14, vcc, v8, v18
	v_addc_co_u32_e32 v15, vcc, v9, v18, vcc
	v_xor_b32_e32 v33, v14, v18
	v_xor_b32_e32 v19, v15, v18
	v_mad_u64_u32 v[14:15], s[0:1], v33, v16, 0
	v_mul_hi_u32 v17, v33, v13
	v_add_co_u32_e32 v40, vcc, v17, v14
	v_addc_co_u32_e32 v41, vcc, 0, v15, vcc
	v_mad_u64_u32 v[14:15], s[0:1], v19, v16, 0
	v_mad_u64_u32 v[16:17], s[0:1], v19, v13, 0
	v_add_co_u32_e32 v13, vcc, v40, v16
	v_addc_co_u32_e32 v13, vcc, v41, v17, vcc
	v_addc_co_u32_e32 v15, vcc, 0, v15, vcc
	v_add_co_u32_e32 v13, vcc, v13, v14
	v_addc_co_u32_e32 v16, vcc, 0, v15, vcc
	v_mul_lo_u32 v17, s7, v13
	v_mul_lo_u32 v40, s6, v16
	v_mad_u64_u32 v[14:15], s[0:1], s6, v13, 0
	v_add3_u32 v15, v15, v40, v17
	v_sub_u32_e32 v17, v19, v15
	v_mov_b32_e32 v40, s7
	v_sub_co_u32_e32 v14, vcc, v33, v14
	v_subb_co_u32_e64 v17, s[0:1], v17, v40, vcc
	v_subrev_co_u32_e64 v33, s[0:1], s6, v14
	v_subbrev_co_u32_e64 v17, s[0:1], 0, v17, s[0:1]
	v_cmp_le_u32_e64 s[0:1], s7, v17
	v_cndmask_b32_e64 v40, 0, -1, s[0:1]
	v_cmp_le_u32_e64 s[0:1], s6, v33
	v_cndmask_b32_e64 v33, 0, -1, s[0:1]
	v_cmp_eq_u32_e64 s[0:1], s7, v17
	v_cndmask_b32_e64 v17, v40, v33, s[0:1]
	v_add_co_u32_e64 v33, s[0:1], 2, v13
	v_subb_co_u32_e32 v15, vcc, v19, v15, vcc
	v_addc_co_u32_e64 v40, s[0:1], 0, v16, s[0:1]
	v_cmp_le_u32_e32 vcc, s7, v15
	v_add_co_u32_e64 v41, s[0:1], 1, v13
	v_cndmask_b32_e64 v19, 0, -1, vcc
	v_cmp_le_u32_e32 vcc, s6, v14
	v_addc_co_u32_e64 v42, s[0:1], 0, v16, s[0:1]
	v_cndmask_b32_e64 v14, 0, -1, vcc
	v_cmp_eq_u32_e32 vcc, s7, v15
	v_cmp_ne_u32_e64 s[0:1], 0, v17
	v_cndmask_b32_e32 v14, v19, v14, vcc
	v_cmp_ne_u32_e32 vcc, 0, v14
	v_cndmask_b32_e64 v15, v41, v33, s[0:1]
	v_cndmask_b32_e64 v17, v42, v40, s[0:1]
	v_cndmask_b32_e32 v13, v13, v15, vcc
	v_xor_b32_e32 v15, s4, v18
	v_cndmask_b32_e32 v14, v16, v17, vcc
	v_xor_b32_e32 v13, v13, v15
	v_xor_b32_e32 v14, v14, v15
	v_sub_co_u32_e32 v40, vcc, v13, v15
	v_subb_co_u32_e32 v41, vcc, v14, v15, vcc
.LBB42_19:                              ;   in Loop: Header=BB42_9 Depth=1
	s_andn2_saveexec_b64 s[0:1], s[2:3]
	s_cbranch_execz .LBB42_21
; %bb.20:                               ;   in Loop: Header=BB42_9 Depth=1
	v_mul_f32_e32 v13, 0x4f7ffffe, v12
	v_cvt_u32_f32_e32 v13, v13
	s_sub_i32 s2, 0, s8
	v_mov_b32_e32 v41, v32
	v_mul_lo_u32 v14, s2, v13
	v_mul_hi_u32 v14, v13, v14
	v_add_u32_e32 v13, v13, v14
	v_mul_hi_u32 v13, v8, v13
	v_mul_lo_u32 v14, v13, s8
	v_sub_u32_e32 v14, v8, v14
	v_add_u32_e32 v15, 1, v13
	v_subrev_u32_e32 v16, s8, v14
	v_cmp_le_u32_e32 vcc, s8, v14
	v_cndmask_b32_e32 v14, v14, v16, vcc
	v_cndmask_b32_e32 v13, v13, v15, vcc
	v_add_u32_e32 v15, 1, v13
	v_cmp_le_u32_e32 vcc, s8, v14
	v_cndmask_b32_e32 v40, v13, v15, vcc
.LBB42_21:                              ;   in Loop: Header=BB42_9 Depth=1
	s_or_b64 exec, exec, s[0:1]
	v_or_b32_e32 v33, s9, v11
	v_cmp_ne_u64_e32 vcc, 0, v[32:33]
                                        ; implicit-def: $vgpr42_vgpr43
	s_and_saveexec_b64 s[0:1], vcc
	s_xor_b64 s[2:3], exec, s[0:1]
	s_cbranch_execz .LBB42_23
; %bb.22:                               ;   in Loop: Header=BB42_9 Depth=1
	s_ashr_i32 s4, s9, 31
	s_add_u32 s0, s8, s4
	s_mov_b32 s5, s4
	s_addc_u32 s1, s9, s4
	s_xor_b64 s[6:7], s[0:1], s[4:5]
	v_cvt_f32_u32_e32 v12, s6
	v_cvt_f32_u32_e32 v13, s7
	s_sub_u32 s0, 0, s6
	s_subb_u32 s1, 0, s7
	v_mac_f32_e32 v12, 0x4f800000, v13
	v_rcp_f32_e32 v12, v12
	v_mul_f32_e32 v12, 0x5f7ffffc, v12
	v_mul_f32_e32 v13, 0x2f800000, v12
	v_trunc_f32_e32 v13, v13
	v_mac_f32_e32 v12, 0xcf800000, v13
	v_cvt_u32_f32_e32 v13, v13
	v_cvt_u32_f32_e32 v12, v12
	v_mul_lo_u32 v14, s0, v13
	v_mul_hi_u32 v16, s0, v12
	v_mul_lo_u32 v15, s1, v12
	v_add_u32_e32 v14, v16, v14
	v_mul_lo_u32 v17, s0, v12
	v_add_u32_e32 v14, v14, v15
	v_mul_lo_u32 v16, v12, v14
	v_mul_hi_u32 v18, v12, v17
	v_mul_hi_u32 v15, v12, v14
	v_add_co_u32_e32 v16, vcc, v18, v16
	v_addc_co_u32_e32 v15, vcc, 0, v15, vcc
	v_mul_hi_u32 v19, v13, v17
	v_mul_lo_u32 v17, v13, v17
	v_add_co_u32_e32 v16, vcc, v16, v17
	v_mul_hi_u32 v18, v13, v14
	v_addc_co_u32_e32 v15, vcc, v15, v19, vcc
	v_addc_co_u32_e32 v16, vcc, 0, v18, vcc
	v_mul_lo_u32 v14, v13, v14
	v_add_co_u32_e32 v14, vcc, v15, v14
	v_addc_co_u32_e32 v15, vcc, 0, v16, vcc
	v_add_co_u32_e32 v12, vcc, v12, v14
	v_addc_co_u32_e32 v13, vcc, v13, v15, vcc
	v_mul_lo_u32 v14, s0, v13
	v_mul_hi_u32 v15, s0, v12
	v_add_u32_e32 v14, v15, v14
	v_mul_lo_u32 v15, s1, v12
	v_add_u32_e32 v14, v14, v15
	v_mul_lo_u32 v16, s0, v12
	v_mul_hi_u32 v17, v13, v16
	v_mul_lo_u32 v18, v13, v16
	v_mul_lo_u32 v33, v12, v14
	v_mul_hi_u32 v16, v12, v16
	v_mul_hi_u32 v19, v12, v14
	v_add_co_u32_e32 v16, vcc, v16, v33
	v_addc_co_u32_e32 v19, vcc, 0, v19, vcc
	v_add_co_u32_e32 v16, vcc, v16, v18
	v_mul_hi_u32 v15, v13, v14
	v_addc_co_u32_e32 v16, vcc, v19, v17, vcc
	v_addc_co_u32_e32 v15, vcc, 0, v15, vcc
	v_mul_lo_u32 v14, v13, v14
	v_add_co_u32_e32 v14, vcc, v16, v14
	v_addc_co_u32_e32 v15, vcc, 0, v15, vcc
	v_add_co_u32_e32 v14, vcc, v12, v14
	v_addc_co_u32_e32 v15, vcc, v13, v15, vcc
	v_ashrrev_i32_e32 v16, 31, v11
	v_add_co_u32_e32 v12, vcc, v10, v16
	v_addc_co_u32_e32 v13, vcc, v11, v16, vcc
	v_xor_b32_e32 v18, v12, v16
	v_xor_b32_e32 v17, v13, v16
	v_mad_u64_u32 v[12:13], s[0:1], v18, v15, 0
	v_mul_hi_u32 v19, v18, v14
	v_add_co_u32_e32 v19, vcc, v19, v12
	v_addc_co_u32_e32 v33, vcc, 0, v13, vcc
	v_mad_u64_u32 v[12:13], s[0:1], v17, v15, 0
	v_mad_u64_u32 v[14:15], s[0:1], v17, v14, 0
	v_add_co_u32_e32 v14, vcc, v19, v14
	v_addc_co_u32_e32 v14, vcc, v33, v15, vcc
	v_addc_co_u32_e32 v13, vcc, 0, v13, vcc
	v_add_co_u32_e32 v14, vcc, v14, v12
	v_addc_co_u32_e32 v15, vcc, 0, v13, vcc
	v_mul_lo_u32 v19, s7, v14
	v_mul_lo_u32 v33, s6, v15
	v_mad_u64_u32 v[12:13], s[0:1], s6, v14, 0
	v_add3_u32 v13, v13, v33, v19
	v_sub_u32_e32 v19, v17, v13
	v_mov_b32_e32 v33, s7
	v_sub_co_u32_e32 v12, vcc, v18, v12
	v_subb_co_u32_e64 v18, s[0:1], v19, v33, vcc
	v_subrev_co_u32_e64 v19, s[0:1], s6, v12
	v_subbrev_co_u32_e64 v18, s[0:1], 0, v18, s[0:1]
	v_cmp_le_u32_e64 s[0:1], s7, v18
	v_cndmask_b32_e64 v33, 0, -1, s[0:1]
	v_cmp_le_u32_e64 s[0:1], s6, v19
	v_cndmask_b32_e64 v19, 0, -1, s[0:1]
	v_cmp_eq_u32_e64 s[0:1], s7, v18
	v_cndmask_b32_e64 v18, v33, v19, s[0:1]
	v_add_co_u32_e64 v19, s[0:1], 2, v14
	v_subb_co_u32_e32 v13, vcc, v17, v13, vcc
	v_addc_co_u32_e64 v33, s[0:1], 0, v15, s[0:1]
	v_cmp_le_u32_e32 vcc, s7, v13
	v_add_co_u32_e64 v42, s[0:1], 1, v14
	v_cndmask_b32_e64 v17, 0, -1, vcc
	v_cmp_le_u32_e32 vcc, s6, v12
	v_addc_co_u32_e64 v43, s[0:1], 0, v15, s[0:1]
	v_cndmask_b32_e64 v12, 0, -1, vcc
	v_cmp_eq_u32_e32 vcc, s7, v13
	v_cmp_ne_u32_e64 s[0:1], 0, v18
	v_cndmask_b32_e32 v12, v17, v12, vcc
	v_cmp_ne_u32_e32 vcc, 0, v12
	v_cndmask_b32_e64 v13, v42, v19, s[0:1]
	v_cndmask_b32_e64 v18, v43, v33, s[0:1]
	v_cndmask_b32_e32 v13, v14, v13, vcc
	v_xor_b32_e32 v14, s4, v16
	v_cndmask_b32_e32 v12, v15, v18, vcc
	v_xor_b32_e32 v13, v13, v14
	v_xor_b32_e32 v12, v12, v14
	v_sub_co_u32_e32 v42, vcc, v13, v14
	v_subb_co_u32_e32 v43, vcc, v12, v14, vcc
                                        ; implicit-def: $vgpr12
.LBB42_23:                              ;   in Loop: Header=BB42_9 Depth=1
	s_andn2_saveexec_b64 s[0:1], s[2:3]
	s_cbranch_execz .LBB42_25
; %bb.24:                               ;   in Loop: Header=BB42_9 Depth=1
	v_mul_f32_e32 v12, 0x4f7ffffe, v12
	v_cvt_u32_f32_e32 v12, v12
	s_sub_i32 s2, 0, s8
	v_mov_b32_e32 v43, v32
	v_mul_lo_u32 v13, s2, v12
	v_mul_hi_u32 v13, v12, v13
	v_add_u32_e32 v12, v12, v13
	v_mul_hi_u32 v12, v10, v12
	v_mul_lo_u32 v13, v12, s8
	v_sub_u32_e32 v13, v10, v13
	v_add_u32_e32 v14, 1, v12
	v_subrev_u32_e32 v15, s8, v13
	v_cmp_le_u32_e32 vcc, s8, v13
	v_cndmask_b32_e32 v13, v13, v15, vcc
	v_cndmask_b32_e32 v12, v12, v14, vcc
	v_add_u32_e32 v14, 1, v12
	v_cmp_le_u32_e32 vcc, s8, v13
	v_cndmask_b32_e32 v42, v12, v14, vcc
.LBB42_25:                              ;   in Loop: Header=BB42_9 Depth=1
	s_or_b64 exec, exec, s[0:1]
	v_cndmask_b32_e64 v12, 0, 1, s[48:49]
	v_cmp_ne_u32_e64 s[0:1], 1, v12
	s_andn2_b64 vcc, exec, s[48:49]
                                        ; implicit-def: $vgpr12_vgpr13_vgpr14_vgpr15_vgpr16_vgpr17_vgpr18_vgpr19
	s_cbranch_vccz .LBB42_29
; %bb.26:                               ;   in Loop: Header=BB42_9 Depth=1
	s_and_b64 vcc, exec, s[0:1]
	s_cbranch_vccz .LBB42_34
.LBB42_27:                              ;   in Loop: Header=BB42_9 Depth=1
	s_and_b64 vcc, exec, s[0:1]
	s_cbranch_vccz .LBB42_39
.LBB42_28:                              ;   in Loop: Header=BB42_9 Depth=1
	s_and_b64 vcc, exec, s[0:1]
	s_cbranch_vccnz .LBB42_8
	s_branch .LBB42_44
.LBB42_29:                              ;   in Loop: Header=BB42_9 Depth=1
	v_mad_u64_u32 v[14:15], s[2:3], s30, v36, v[24:25]
	v_mul_lo_u32 v12, s30, v37
	v_mul_lo_u32 v13, s31, v36
	v_add3_u32 v15, v13, v15, v12
	v_or_b32_e32 v33, s23, v15
	v_cmp_ne_u64_e32 vcc, 0, v[32:33]
                                        ; implicit-def: $vgpr12_vgpr13
	s_and_saveexec_b64 s[2:3], vcc
	s_xor_b64 s[6:7], exec, s[2:3]
	s_cbranch_execz .LBB42_31
; %bb.30:                               ;   in Loop: Header=BB42_9 Depth=1
	s_ashr_i32 s2, s23, 31
	s_add_u32 s4, s22, s2
	s_mov_b32 s3, s2
	s_addc_u32 s5, s23, s2
	s_xor_b64 s[52:53], s[4:5], s[2:3]
	v_cvt_f32_u32_e32 v12, s52
	v_cvt_f32_u32_e32 v13, s53
	s_sub_u32 s2, 0, s52
	s_subb_u32 s3, 0, s53
	v_mac_f32_e32 v12, 0x4f800000, v13
	v_rcp_f32_e32 v12, v12
	v_mul_f32_e32 v12, 0x5f7ffffc, v12
	v_mul_f32_e32 v13, 0x2f800000, v12
	v_trunc_f32_e32 v13, v13
	v_mac_f32_e32 v12, 0xcf800000, v13
	v_cvt_u32_f32_e32 v13, v13
	v_cvt_u32_f32_e32 v12, v12
	v_mul_lo_u32 v16, s2, v13
	v_mul_hi_u32 v18, s2, v12
	v_mul_lo_u32 v17, s3, v12
	v_add_u32_e32 v16, v18, v16
	v_mul_lo_u32 v19, s2, v12
	v_add_u32_e32 v16, v16, v17
	v_mul_lo_u32 v18, v12, v16
	v_mul_hi_u32 v33, v12, v19
	v_mul_hi_u32 v17, v12, v16
	v_add_co_u32_e32 v18, vcc, v33, v18
	v_addc_co_u32_e32 v17, vcc, 0, v17, vcc
	v_mul_hi_u32 v44, v13, v19
	v_mul_lo_u32 v19, v13, v19
	v_add_co_u32_e32 v18, vcc, v18, v19
	v_mul_hi_u32 v33, v13, v16
	v_addc_co_u32_e32 v17, vcc, v17, v44, vcc
	v_addc_co_u32_e32 v18, vcc, 0, v33, vcc
	v_mul_lo_u32 v16, v13, v16
	v_add_co_u32_e32 v16, vcc, v17, v16
	v_addc_co_u32_e32 v17, vcc, 0, v18, vcc
	v_add_co_u32_e32 v12, vcc, v12, v16
	v_addc_co_u32_e32 v13, vcc, v13, v17, vcc
	v_mul_lo_u32 v16, s2, v13
	v_mul_hi_u32 v17, s2, v12
	v_add_u32_e32 v16, v17, v16
	v_mul_lo_u32 v17, s3, v12
	v_add_u32_e32 v16, v16, v17
	v_mul_lo_u32 v18, s2, v12
	v_mul_hi_u32 v19, v13, v18
	v_mul_lo_u32 v33, v13, v18
	v_mul_lo_u32 v45, v12, v16
	v_mul_hi_u32 v18, v12, v18
	v_mul_hi_u32 v44, v12, v16
	v_add_co_u32_e32 v18, vcc, v18, v45
	v_addc_co_u32_e32 v44, vcc, 0, v44, vcc
	v_add_co_u32_e32 v18, vcc, v18, v33
	v_mul_hi_u32 v17, v13, v16
	v_addc_co_u32_e32 v18, vcc, v44, v19, vcc
	v_addc_co_u32_e32 v17, vcc, 0, v17, vcc
	v_mul_lo_u32 v16, v13, v16
	v_add_co_u32_e32 v16, vcc, v18, v16
	v_addc_co_u32_e32 v17, vcc, 0, v17, vcc
	v_add_co_u32_e32 v16, vcc, v12, v16
	v_addc_co_u32_e32 v17, vcc, v13, v17, vcc
	v_ashrrev_i32_e32 v18, 31, v15
	v_add_co_u32_e32 v12, vcc, v14, v18
	v_addc_co_u32_e32 v13, vcc, v15, v18, vcc
	v_xor_b32_e32 v33, v12, v18
	v_xor_b32_e32 v19, v13, v18
	v_mad_u64_u32 v[12:13], s[2:3], v33, v17, 0
	v_mul_hi_u32 v14, v33, v16
	v_add_co_u32_e32 v44, vcc, v14, v12
	v_addc_co_u32_e32 v45, vcc, 0, v13, vcc
	v_mad_u64_u32 v[14:15], s[2:3], v19, v16, 0
	v_add_co_u32_e32 v14, vcc, v44, v14
	v_mad_u64_u32 v[12:13], s[2:3], v19, v17, 0
	v_addc_co_u32_e32 v14, vcc, v45, v15, vcc
	v_addc_co_u32_e32 v13, vcc, 0, v13, vcc
	v_add_co_u32_e32 v12, vcc, v14, v12
	v_addc_co_u32_e32 v13, vcc, 0, v13, vcc
	v_mul_lo_u32 v14, s53, v12
	v_mul_lo_u32 v15, s52, v13
	v_mad_u64_u32 v[12:13], s[2:3], s52, v12, 0
	v_add3_u32 v13, v13, v15, v14
	v_sub_u32_e32 v14, v19, v13
	v_mov_b32_e32 v15, s53
	v_sub_co_u32_e32 v12, vcc, v33, v12
	v_subb_co_u32_e64 v14, s[2:3], v14, v15, vcc
	v_subrev_co_u32_e64 v16, s[2:3], s52, v12
	v_subbrev_co_u32_e64 v17, s[4:5], 0, v14, s[2:3]
	v_cmp_le_u32_e64 s[4:5], s53, v17
	v_cndmask_b32_e64 v33, 0, -1, s[4:5]
	v_cmp_le_u32_e64 s[4:5], s52, v16
	v_subb_co_u32_e64 v14, s[2:3], v14, v15, s[2:3]
	v_cndmask_b32_e64 v44, 0, -1, s[4:5]
	v_cmp_eq_u32_e64 s[4:5], s53, v17
	v_subrev_co_u32_e64 v15, s[2:3], s52, v16
	v_cndmask_b32_e64 v33, v33, v44, s[4:5]
	v_subbrev_co_u32_e64 v14, s[2:3], 0, v14, s[2:3]
	v_subb_co_u32_e32 v13, vcc, v19, v13, vcc
	v_cmp_ne_u32_e64 s[2:3], 0, v33
	v_cmp_le_u32_e32 vcc, s53, v13
	v_cndmask_b32_e64 v14, v17, v14, s[2:3]
	v_cndmask_b32_e64 v17, 0, -1, vcc
	v_cmp_le_u32_e32 vcc, s52, v12
	v_cndmask_b32_e64 v19, 0, -1, vcc
	v_cmp_eq_u32_e32 vcc, s53, v13
	v_cndmask_b32_e32 v17, v17, v19, vcc
	v_cmp_ne_u32_e32 vcc, 0, v17
	v_cndmask_b32_e32 v13, v13, v14, vcc
	v_cndmask_b32_e64 v14, v16, v15, s[2:3]
	v_cndmask_b32_e32 v12, v12, v14, vcc
	v_xor_b32_e32 v12, v12, v18
	v_xor_b32_e32 v13, v13, v18
	v_sub_co_u32_e32 v12, vcc, v12, v18
	v_subb_co_u32_e32 v13, vcc, v13, v18, vcc
                                        ; implicit-def: $vgpr14_vgpr15
.LBB42_31:                              ;   in Loop: Header=BB42_9 Depth=1
	s_andn2_saveexec_b64 s[2:3], s[6:7]
	s_cbranch_execz .LBB42_33
; %bb.32:                               ;   in Loop: Header=BB42_9 Depth=1
	v_cvt_f32_u32_e32 v12, s22
	s_sub_i32 s4, 0, s22
	v_rcp_iflag_f32_e32 v12, v12
	v_mul_f32_e32 v12, 0x4f7ffffe, v12
	v_cvt_u32_f32_e32 v12, v12
	v_mul_lo_u32 v13, s4, v12
	v_mul_hi_u32 v13, v12, v13
	v_add_u32_e32 v12, v12, v13
	v_mul_hi_u32 v12, v14, v12
	v_mul_lo_u32 v12, v12, s22
	v_sub_u32_e32 v12, v14, v12
	v_subrev_u32_e32 v13, s22, v12
	v_cmp_le_u32_e32 vcc, s22, v12
	v_cndmask_b32_e32 v12, v12, v13, vcc
	v_subrev_u32_e32 v13, s22, v12
	v_cmp_le_u32_e32 vcc, s22, v12
	v_cndmask_b32_e32 v12, v12, v13, vcc
	v_mov_b32_e32 v13, v32
.LBB42_33:                              ;   in Loop: Header=BB42_9 Depth=1
	s_or_b64 exec, exec, s[2:3]
                                        ; kill: def $vgpr14 killed $sgpr0 killed $exec
	s_and_b64 vcc, exec, s[0:1]
	s_cbranch_vccnz .LBB42_27
.LBB42_34:                              ;   in Loop: Header=BB42_9 Depth=1
	v_mad_u64_u32 v[44:45], s[2:3], s30, v38, v[30:31]
	v_mul_lo_u32 v14, s30, v39
	v_mul_lo_u32 v15, s31, v38
	v_add3_u32 v45, v15, v45, v14
	v_or_b32_e32 v33, s23, v45
	v_cmp_ne_u64_e32 vcc, 0, v[32:33]
                                        ; kill: def $vgpr14_vgpr15 killed $sgpr0_sgpr1 killed $exec
	s_and_saveexec_b64 s[2:3], vcc
	s_xor_b64 s[6:7], exec, s[2:3]
	s_cbranch_execz .LBB42_36
; %bb.35:                               ;   in Loop: Header=BB42_9 Depth=1
	s_ashr_i32 s2, s23, 31
	s_add_u32 s4, s22, s2
	s_mov_b32 s3, s2
	s_addc_u32 s5, s23, s2
	s_xor_b64 s[52:53], s[4:5], s[2:3]
	v_cvt_f32_u32_e32 v14, s52
	v_cvt_f32_u32_e32 v15, s53
	s_sub_u32 s2, 0, s52
	s_subb_u32 s3, 0, s53
	v_mac_f32_e32 v14, 0x4f800000, v15
	v_rcp_f32_e32 v14, v14
	v_mul_f32_e32 v14, 0x5f7ffffc, v14
	v_mul_f32_e32 v15, 0x2f800000, v14
	v_trunc_f32_e32 v15, v15
	v_mac_f32_e32 v14, 0xcf800000, v15
	v_cvt_u32_f32_e32 v15, v15
	v_cvt_u32_f32_e32 v14, v14
	v_mul_lo_u32 v33, s2, v15
	v_mul_hi_u32 v47, s2, v14
	v_mul_lo_u32 v46, s3, v14
	v_add_u32_e32 v33, v47, v33
	v_mul_lo_u32 v48, s2, v14
	v_add_u32_e32 v33, v33, v46
	v_mul_lo_u32 v47, v14, v33
	v_mul_hi_u32 v49, v14, v48
	v_mul_hi_u32 v46, v14, v33
	v_add_co_u32_e32 v47, vcc, v49, v47
	v_addc_co_u32_e32 v46, vcc, 0, v46, vcc
	v_mul_hi_u32 v50, v15, v48
	v_mul_lo_u32 v48, v15, v48
	v_add_co_u32_e32 v47, vcc, v47, v48
	v_mul_hi_u32 v49, v15, v33
	v_addc_co_u32_e32 v46, vcc, v46, v50, vcc
	v_addc_co_u32_e32 v47, vcc, 0, v49, vcc
	v_mul_lo_u32 v33, v15, v33
	v_add_co_u32_e32 v33, vcc, v46, v33
	v_addc_co_u32_e32 v46, vcc, 0, v47, vcc
	v_add_co_u32_e32 v14, vcc, v14, v33
	v_addc_co_u32_e32 v15, vcc, v15, v46, vcc
	v_mul_lo_u32 v33, s2, v15
	v_mul_hi_u32 v46, s2, v14
	v_add_u32_e32 v33, v46, v33
	v_mul_lo_u32 v46, s3, v14
	v_add_u32_e32 v33, v33, v46
	v_mul_lo_u32 v47, s2, v14
	v_mul_hi_u32 v48, v15, v47
	v_mul_lo_u32 v49, v15, v47
	v_mul_lo_u32 v51, v14, v33
	v_mul_hi_u32 v47, v14, v47
	v_mul_hi_u32 v50, v14, v33
	v_add_co_u32_e32 v47, vcc, v47, v51
	v_addc_co_u32_e32 v50, vcc, 0, v50, vcc
	v_add_co_u32_e32 v47, vcc, v47, v49
	v_mul_hi_u32 v46, v15, v33
	v_addc_co_u32_e32 v47, vcc, v50, v48, vcc
	v_addc_co_u32_e32 v46, vcc, 0, v46, vcc
	v_mul_lo_u32 v33, v15, v33
	v_add_co_u32_e32 v33, vcc, v47, v33
	v_addc_co_u32_e32 v46, vcc, 0, v46, vcc
	v_add_co_u32_e32 v33, vcc, v14, v33
	v_addc_co_u32_e32 v46, vcc, v15, v46, vcc
	v_ashrrev_i32_e32 v47, 31, v45
	v_add_co_u32_e32 v14, vcc, v44, v47
	v_addc_co_u32_e32 v15, vcc, v45, v47, vcc
	v_xor_b32_e32 v49, v14, v47
	v_xor_b32_e32 v48, v15, v47
	v_mad_u64_u32 v[14:15], s[2:3], v49, v46, 0
	v_mul_hi_u32 v44, v49, v33
	v_add_co_u32_e32 v50, vcc, v44, v14
	v_addc_co_u32_e32 v51, vcc, 0, v15, vcc
	v_mad_u64_u32 v[44:45], s[2:3], v48, v33, 0
	v_add_co_u32_e32 v33, vcc, v50, v44
	v_mad_u64_u32 v[14:15], s[2:3], v48, v46, 0
	v_addc_co_u32_e32 v33, vcc, v51, v45, vcc
	v_addc_co_u32_e32 v15, vcc, 0, v15, vcc
	v_add_co_u32_e32 v14, vcc, v33, v14
	v_addc_co_u32_e32 v15, vcc, 0, v15, vcc
	v_mul_lo_u32 v33, s53, v14
	v_mul_lo_u32 v44, s52, v15
	v_mad_u64_u32 v[14:15], s[2:3], s52, v14, 0
	v_add3_u32 v15, v15, v44, v33
	v_sub_u32_e32 v33, v48, v15
	v_mov_b32_e32 v44, s53
	v_sub_co_u32_e32 v14, vcc, v49, v14
	v_subb_co_u32_e64 v33, s[2:3], v33, v44, vcc
	v_subrev_co_u32_e64 v45, s[2:3], s52, v14
	v_subbrev_co_u32_e64 v46, s[4:5], 0, v33, s[2:3]
	v_cmp_le_u32_e64 s[4:5], s53, v46
	v_cndmask_b32_e64 v49, 0, -1, s[4:5]
	v_cmp_le_u32_e64 s[4:5], s52, v45
	v_subb_co_u32_e64 v33, s[2:3], v33, v44, s[2:3]
	v_cndmask_b32_e64 v50, 0, -1, s[4:5]
	v_cmp_eq_u32_e64 s[4:5], s53, v46
	v_subrev_co_u32_e64 v44, s[2:3], s52, v45
	v_cndmask_b32_e64 v49, v49, v50, s[4:5]
	v_subbrev_co_u32_e64 v33, s[2:3], 0, v33, s[2:3]
	v_subb_co_u32_e32 v15, vcc, v48, v15, vcc
	v_cmp_ne_u32_e64 s[2:3], 0, v49
	v_cmp_le_u32_e32 vcc, s53, v15
	v_cndmask_b32_e64 v33, v46, v33, s[2:3]
	v_cndmask_b32_e64 v46, 0, -1, vcc
	v_cmp_le_u32_e32 vcc, s52, v14
	v_cndmask_b32_e64 v48, 0, -1, vcc
	v_cmp_eq_u32_e32 vcc, s53, v15
	v_cndmask_b32_e32 v46, v46, v48, vcc
	v_cmp_ne_u32_e32 vcc, 0, v46
	v_cndmask_b32_e32 v15, v15, v33, vcc
	v_cndmask_b32_e64 v33, v45, v44, s[2:3]
	v_cndmask_b32_e32 v14, v14, v33, vcc
	v_xor_b32_e32 v14, v14, v47
	v_xor_b32_e32 v15, v15, v47
	v_sub_co_u32_e32 v14, vcc, v14, v47
	v_subb_co_u32_e32 v15, vcc, v15, v47, vcc
                                        ; implicit-def: $vgpr44_vgpr45
.LBB42_36:                              ;   in Loop: Header=BB42_9 Depth=1
	s_andn2_saveexec_b64 s[2:3], s[6:7]
	s_cbranch_execz .LBB42_38
; %bb.37:                               ;   in Loop: Header=BB42_9 Depth=1
	v_cvt_f32_u32_e32 v14, s22
	s_sub_i32 s4, 0, s22
	v_rcp_iflag_f32_e32 v14, v14
	v_mul_f32_e32 v14, 0x4f7ffffe, v14
	v_cvt_u32_f32_e32 v14, v14
	v_mul_lo_u32 v15, s4, v14
	v_mul_hi_u32 v15, v14, v15
	v_add_u32_e32 v14, v14, v15
	v_mul_hi_u32 v14, v44, v14
	v_mul_lo_u32 v14, v14, s22
	v_sub_u32_e32 v14, v44, v14
	v_subrev_u32_e32 v15, s22, v14
	v_cmp_le_u32_e32 vcc, s22, v14
	v_cndmask_b32_e32 v14, v14, v15, vcc
	v_subrev_u32_e32 v15, s22, v14
	v_cmp_le_u32_e32 vcc, s22, v14
	v_cndmask_b32_e32 v14, v14, v15, vcc
	v_mov_b32_e32 v15, v32
.LBB42_38:                              ;   in Loop: Header=BB42_9 Depth=1
	s_or_b64 exec, exec, s[2:3]
	s_and_b64 vcc, exec, s[0:1]
	s_cbranch_vccnz .LBB42_28
.LBB42_39:                              ;   in Loop: Header=BB42_9 Depth=1
	v_mad_u64_u32 v[44:45], s[2:3], s30, v40, v[28:29]
	v_mul_lo_u32 v16, s30, v41
	v_mul_lo_u32 v17, s31, v40
	v_add3_u32 v45, v17, v45, v16
	v_or_b32_e32 v33, s23, v45
	v_cmp_ne_u64_e32 vcc, 0, v[32:33]
                                        ; kill: def $vgpr16_vgpr17 killed $sgpr0_sgpr1 killed $exec
	s_and_saveexec_b64 s[2:3], vcc
	s_xor_b64 s[6:7], exec, s[2:3]
	s_cbranch_execz .LBB42_41
; %bb.40:                               ;   in Loop: Header=BB42_9 Depth=1
	s_ashr_i32 s2, s23, 31
	s_add_u32 s4, s22, s2
	s_mov_b32 s3, s2
	s_addc_u32 s5, s23, s2
	s_xor_b64 s[52:53], s[4:5], s[2:3]
	v_cvt_f32_u32_e32 v16, s52
	v_cvt_f32_u32_e32 v17, s53
	s_sub_u32 s2, 0, s52
	s_subb_u32 s3, 0, s53
	v_mac_f32_e32 v16, 0x4f800000, v17
	v_rcp_f32_e32 v16, v16
	v_mul_f32_e32 v16, 0x5f7ffffc, v16
	v_mul_f32_e32 v17, 0x2f800000, v16
	v_trunc_f32_e32 v17, v17
	v_mac_f32_e32 v16, 0xcf800000, v17
	v_cvt_u32_f32_e32 v17, v17
	v_cvt_u32_f32_e32 v16, v16
	v_mul_lo_u32 v33, s2, v17
	v_mul_hi_u32 v47, s2, v16
	v_mul_lo_u32 v46, s3, v16
	v_add_u32_e32 v33, v47, v33
	v_mul_lo_u32 v48, s2, v16
	v_add_u32_e32 v33, v33, v46
	v_mul_lo_u32 v47, v16, v33
	v_mul_hi_u32 v49, v16, v48
	v_mul_hi_u32 v46, v16, v33
	v_add_co_u32_e32 v47, vcc, v49, v47
	v_addc_co_u32_e32 v46, vcc, 0, v46, vcc
	v_mul_hi_u32 v50, v17, v48
	v_mul_lo_u32 v48, v17, v48
	v_add_co_u32_e32 v47, vcc, v47, v48
	v_mul_hi_u32 v49, v17, v33
	v_addc_co_u32_e32 v46, vcc, v46, v50, vcc
	v_addc_co_u32_e32 v47, vcc, 0, v49, vcc
	v_mul_lo_u32 v33, v17, v33
	v_add_co_u32_e32 v33, vcc, v46, v33
	v_addc_co_u32_e32 v46, vcc, 0, v47, vcc
	v_add_co_u32_e32 v16, vcc, v16, v33
	v_addc_co_u32_e32 v17, vcc, v17, v46, vcc
	v_mul_lo_u32 v33, s2, v17
	v_mul_hi_u32 v46, s2, v16
	v_add_u32_e32 v33, v46, v33
	v_mul_lo_u32 v46, s3, v16
	v_add_u32_e32 v33, v33, v46
	v_mul_lo_u32 v47, s2, v16
	v_mul_hi_u32 v48, v17, v47
	v_mul_lo_u32 v49, v17, v47
	v_mul_lo_u32 v51, v16, v33
	v_mul_hi_u32 v47, v16, v47
	v_mul_hi_u32 v50, v16, v33
	v_add_co_u32_e32 v47, vcc, v47, v51
	v_addc_co_u32_e32 v50, vcc, 0, v50, vcc
	v_add_co_u32_e32 v47, vcc, v47, v49
	v_mul_hi_u32 v46, v17, v33
	v_addc_co_u32_e32 v47, vcc, v50, v48, vcc
	v_addc_co_u32_e32 v46, vcc, 0, v46, vcc
	v_mul_lo_u32 v33, v17, v33
	v_add_co_u32_e32 v33, vcc, v47, v33
	v_addc_co_u32_e32 v46, vcc, 0, v46, vcc
	v_add_co_u32_e32 v33, vcc, v16, v33
	v_addc_co_u32_e32 v46, vcc, v17, v46, vcc
	v_ashrrev_i32_e32 v47, 31, v45
	v_add_co_u32_e32 v16, vcc, v44, v47
	v_addc_co_u32_e32 v17, vcc, v45, v47, vcc
	v_xor_b32_e32 v49, v16, v47
	v_xor_b32_e32 v48, v17, v47
	v_mad_u64_u32 v[16:17], s[2:3], v49, v46, 0
	v_mul_hi_u32 v44, v49, v33
	v_add_co_u32_e32 v50, vcc, v44, v16
	v_addc_co_u32_e32 v51, vcc, 0, v17, vcc
	v_mad_u64_u32 v[44:45], s[2:3], v48, v33, 0
	v_add_co_u32_e32 v33, vcc, v50, v44
	v_mad_u64_u32 v[16:17], s[2:3], v48, v46, 0
	v_addc_co_u32_e32 v33, vcc, v51, v45, vcc
	v_addc_co_u32_e32 v17, vcc, 0, v17, vcc
	v_add_co_u32_e32 v16, vcc, v33, v16
	v_addc_co_u32_e32 v17, vcc, 0, v17, vcc
	v_mul_lo_u32 v33, s53, v16
	v_mul_lo_u32 v44, s52, v17
	v_mad_u64_u32 v[16:17], s[2:3], s52, v16, 0
	v_add3_u32 v17, v17, v44, v33
	v_sub_u32_e32 v33, v48, v17
	v_mov_b32_e32 v44, s53
	v_sub_co_u32_e32 v16, vcc, v49, v16
	v_subb_co_u32_e64 v33, s[2:3], v33, v44, vcc
	v_subrev_co_u32_e64 v45, s[2:3], s52, v16
	v_subbrev_co_u32_e64 v46, s[4:5], 0, v33, s[2:3]
	v_cmp_le_u32_e64 s[4:5], s53, v46
	v_cndmask_b32_e64 v49, 0, -1, s[4:5]
	v_cmp_le_u32_e64 s[4:5], s52, v45
	v_subb_co_u32_e64 v33, s[2:3], v33, v44, s[2:3]
	v_cndmask_b32_e64 v50, 0, -1, s[4:5]
	v_cmp_eq_u32_e64 s[4:5], s53, v46
	v_subrev_co_u32_e64 v44, s[2:3], s52, v45
	v_cndmask_b32_e64 v49, v49, v50, s[4:5]
	v_subbrev_co_u32_e64 v33, s[2:3], 0, v33, s[2:3]
	v_subb_co_u32_e32 v17, vcc, v48, v17, vcc
	v_cmp_ne_u32_e64 s[2:3], 0, v49
	v_cmp_le_u32_e32 vcc, s53, v17
	v_cndmask_b32_e64 v33, v46, v33, s[2:3]
	v_cndmask_b32_e64 v46, 0, -1, vcc
	v_cmp_le_u32_e32 vcc, s52, v16
	v_cndmask_b32_e64 v48, 0, -1, vcc
	v_cmp_eq_u32_e32 vcc, s53, v17
	v_cndmask_b32_e32 v46, v46, v48, vcc
	v_cmp_ne_u32_e32 vcc, 0, v46
	v_cndmask_b32_e32 v17, v17, v33, vcc
	v_cndmask_b32_e64 v33, v45, v44, s[2:3]
	v_cndmask_b32_e32 v16, v16, v33, vcc
	v_xor_b32_e32 v16, v16, v47
	v_xor_b32_e32 v17, v17, v47
	v_sub_co_u32_e32 v16, vcc, v16, v47
	v_subb_co_u32_e32 v17, vcc, v17, v47, vcc
                                        ; implicit-def: $vgpr44_vgpr45
.LBB42_41:                              ;   in Loop: Header=BB42_9 Depth=1
	s_andn2_saveexec_b64 s[2:3], s[6:7]
	s_cbranch_execz .LBB42_43
; %bb.42:                               ;   in Loop: Header=BB42_9 Depth=1
	v_cvt_f32_u32_e32 v16, s22
	s_sub_i32 s4, 0, s22
	v_rcp_iflag_f32_e32 v16, v16
	v_mul_f32_e32 v16, 0x4f7ffffe, v16
	v_cvt_u32_f32_e32 v16, v16
	v_mul_lo_u32 v17, s4, v16
	v_mul_hi_u32 v17, v16, v17
	v_add_u32_e32 v16, v16, v17
	v_mul_hi_u32 v16, v44, v16
	v_mul_lo_u32 v16, v16, s22
	v_sub_u32_e32 v16, v44, v16
	v_subrev_u32_e32 v17, s22, v16
	v_cmp_le_u32_e32 vcc, s22, v16
	v_cndmask_b32_e32 v16, v16, v17, vcc
	v_subrev_u32_e32 v17, s22, v16
	v_cmp_le_u32_e32 vcc, s22, v16
	v_cndmask_b32_e32 v16, v16, v17, vcc
	v_mov_b32_e32 v17, v32
.LBB42_43:                              ;   in Loop: Header=BB42_9 Depth=1
	s_or_b64 exec, exec, s[2:3]
	s_and_b64 vcc, exec, s[0:1]
	s_cbranch_vccnz .LBB42_8
.LBB42_44:                              ;   in Loop: Header=BB42_9 Depth=1
	v_mad_u64_u32 v[44:45], s[0:1], s30, v42, v[0:1]
	v_mul_lo_u32 v18, s30, v43
	v_mul_lo_u32 v19, s31, v42
	v_add3_u32 v45, v19, v45, v18
	v_or_b32_e32 v33, s23, v45
	v_cmp_ne_u64_e32 vcc, 0, v[32:33]
                                        ; kill: def $vgpr18_vgpr19 killed $sgpr0_sgpr1 killed $exec
	s_and_saveexec_b64 s[0:1], vcc
	s_xor_b64 s[4:5], exec, s[0:1]
	s_cbranch_execz .LBB42_46
; %bb.45:                               ;   in Loop: Header=BB42_9 Depth=1
	s_ashr_i32 s0, s23, 31
	s_add_u32 s2, s22, s0
	s_mov_b32 s1, s0
	s_addc_u32 s3, s23, s0
	s_xor_b64 s[6:7], s[2:3], s[0:1]
	v_cvt_f32_u32_e32 v18, s6
	v_cvt_f32_u32_e32 v19, s7
	s_sub_u32 s0, 0, s6
	s_subb_u32 s1, 0, s7
	v_mac_f32_e32 v18, 0x4f800000, v19
	v_rcp_f32_e32 v18, v18
	v_mul_f32_e32 v18, 0x5f7ffffc, v18
	v_mul_f32_e32 v19, 0x2f800000, v18
	v_trunc_f32_e32 v19, v19
	v_mac_f32_e32 v18, 0xcf800000, v19
	v_cvt_u32_f32_e32 v19, v19
	v_cvt_u32_f32_e32 v18, v18
	v_mul_lo_u32 v33, s0, v19
	v_mul_hi_u32 v47, s0, v18
	v_mul_lo_u32 v46, s1, v18
	v_add_u32_e32 v33, v47, v33
	v_mul_lo_u32 v48, s0, v18
	v_add_u32_e32 v33, v33, v46
	v_mul_lo_u32 v47, v18, v33
	v_mul_hi_u32 v49, v18, v48
	v_mul_hi_u32 v46, v18, v33
	v_add_co_u32_e32 v47, vcc, v49, v47
	v_addc_co_u32_e32 v46, vcc, 0, v46, vcc
	v_mul_hi_u32 v50, v19, v48
	v_mul_lo_u32 v48, v19, v48
	v_add_co_u32_e32 v47, vcc, v47, v48
	v_mul_hi_u32 v49, v19, v33
	v_addc_co_u32_e32 v46, vcc, v46, v50, vcc
	v_addc_co_u32_e32 v47, vcc, 0, v49, vcc
	v_mul_lo_u32 v33, v19, v33
	v_add_co_u32_e32 v33, vcc, v46, v33
	v_addc_co_u32_e32 v46, vcc, 0, v47, vcc
	v_add_co_u32_e32 v18, vcc, v18, v33
	v_addc_co_u32_e32 v19, vcc, v19, v46, vcc
	v_mul_lo_u32 v33, s0, v19
	v_mul_hi_u32 v46, s0, v18
	v_add_u32_e32 v33, v46, v33
	v_mul_lo_u32 v46, s1, v18
	v_add_u32_e32 v33, v33, v46
	v_mul_lo_u32 v47, s0, v18
	v_mul_hi_u32 v48, v19, v47
	v_mul_lo_u32 v49, v19, v47
	v_mul_lo_u32 v51, v18, v33
	v_mul_hi_u32 v47, v18, v47
	v_mul_hi_u32 v50, v18, v33
	v_add_co_u32_e32 v47, vcc, v47, v51
	v_addc_co_u32_e32 v50, vcc, 0, v50, vcc
	v_add_co_u32_e32 v47, vcc, v47, v49
	v_mul_hi_u32 v46, v19, v33
	v_addc_co_u32_e32 v47, vcc, v50, v48, vcc
	v_addc_co_u32_e32 v46, vcc, 0, v46, vcc
	v_mul_lo_u32 v33, v19, v33
	v_add_co_u32_e32 v33, vcc, v47, v33
	v_addc_co_u32_e32 v46, vcc, 0, v46, vcc
	v_add_co_u32_e32 v33, vcc, v18, v33
	v_addc_co_u32_e32 v46, vcc, v19, v46, vcc
	v_ashrrev_i32_e32 v47, 31, v45
	v_add_co_u32_e32 v18, vcc, v44, v47
	v_addc_co_u32_e32 v19, vcc, v45, v47, vcc
	v_xor_b32_e32 v49, v18, v47
	v_xor_b32_e32 v48, v19, v47
	v_mad_u64_u32 v[18:19], s[0:1], v49, v46, 0
	v_mul_hi_u32 v44, v49, v33
	v_add_co_u32_e32 v50, vcc, v44, v18
	v_addc_co_u32_e32 v51, vcc, 0, v19, vcc
	v_mad_u64_u32 v[44:45], s[0:1], v48, v33, 0
	v_add_co_u32_e32 v33, vcc, v50, v44
	v_mad_u64_u32 v[18:19], s[0:1], v48, v46, 0
	v_addc_co_u32_e32 v33, vcc, v51, v45, vcc
	v_addc_co_u32_e32 v19, vcc, 0, v19, vcc
	v_add_co_u32_e32 v18, vcc, v33, v18
	v_addc_co_u32_e32 v19, vcc, 0, v19, vcc
	v_mul_lo_u32 v33, s7, v18
	v_mul_lo_u32 v44, s6, v19
	v_mad_u64_u32 v[18:19], s[0:1], s6, v18, 0
	v_add3_u32 v19, v19, v44, v33
	v_sub_u32_e32 v33, v48, v19
	v_mov_b32_e32 v44, s7
	v_sub_co_u32_e32 v18, vcc, v49, v18
	v_subb_co_u32_e64 v33, s[0:1], v33, v44, vcc
	v_subrev_co_u32_e64 v45, s[0:1], s6, v18
	v_subbrev_co_u32_e64 v46, s[2:3], 0, v33, s[0:1]
	v_cmp_le_u32_e64 s[2:3], s7, v46
	v_cndmask_b32_e64 v49, 0, -1, s[2:3]
	v_cmp_le_u32_e64 s[2:3], s6, v45
	v_subb_co_u32_e64 v33, s[0:1], v33, v44, s[0:1]
	v_cndmask_b32_e64 v50, 0, -1, s[2:3]
	v_cmp_eq_u32_e64 s[2:3], s7, v46
	v_subrev_co_u32_e64 v44, s[0:1], s6, v45
	v_cndmask_b32_e64 v49, v49, v50, s[2:3]
	v_subbrev_co_u32_e64 v33, s[0:1], 0, v33, s[0:1]
	v_subb_co_u32_e32 v19, vcc, v48, v19, vcc
	v_cmp_ne_u32_e64 s[0:1], 0, v49
	v_cmp_le_u32_e32 vcc, s7, v19
	v_cndmask_b32_e64 v33, v46, v33, s[0:1]
	v_cndmask_b32_e64 v46, 0, -1, vcc
	v_cmp_le_u32_e32 vcc, s6, v18
	v_cndmask_b32_e64 v48, 0, -1, vcc
	v_cmp_eq_u32_e32 vcc, s7, v19
	v_cndmask_b32_e32 v46, v46, v48, vcc
	v_cmp_ne_u32_e32 vcc, 0, v46
	v_cndmask_b32_e32 v19, v19, v33, vcc
	v_cndmask_b32_e64 v33, v45, v44, s[0:1]
	v_cndmask_b32_e32 v18, v18, v33, vcc
	v_xor_b32_e32 v18, v18, v47
	v_xor_b32_e32 v19, v19, v47
	v_sub_co_u32_e32 v18, vcc, v18, v47
	v_subb_co_u32_e32 v19, vcc, v19, v47, vcc
                                        ; implicit-def: $vgpr44_vgpr45
.LBB42_46:                              ;   in Loop: Header=BB42_9 Depth=1
	s_andn2_saveexec_b64 s[0:1], s[4:5]
	s_cbranch_execz .LBB42_7
; %bb.47:                               ;   in Loop: Header=BB42_9 Depth=1
	v_cvt_f32_u32_e32 v18, s22
	s_sub_i32 s2, 0, s22
	v_rcp_iflag_f32_e32 v18, v18
	v_mul_f32_e32 v18, 0x4f7ffffe, v18
	v_cvt_u32_f32_e32 v18, v18
	v_mul_lo_u32 v19, s2, v18
	v_mul_hi_u32 v19, v18, v19
	v_add_u32_e32 v18, v18, v19
	v_mul_hi_u32 v18, v44, v18
	v_mul_lo_u32 v18, v18, s22
	v_sub_u32_e32 v18, v44, v18
	v_subrev_u32_e32 v19, s22, v18
	v_cmp_le_u32_e32 vcc, s22, v18
	v_cndmask_b32_e32 v18, v18, v19, vcc
	v_subrev_u32_e32 v19, s22, v18
	v_cmp_le_u32_e32 vcc, s22, v18
	v_cndmask_b32_e32 v18, v18, v19, vcc
	v_mov_b32_e32 v19, v32
	s_branch .LBB42_7
.LBB42_48:
	s_or_b64 exec, exec, s[46:47]
	v_mad_u64_u32 v[2:3], s[0:1], v22, s20, v[2:3]
	v_mul_lo_u32 v0, v22, s21
	v_mul_lo_u32 v1, v23, s20
	v_cmp_ne_u64_e32 vcc, v[20:21], v[22:23]
	v_add3_u32 v3, v1, v3, v0
	s_and_b64 s[0:1], vcc, exec
.LBB42_49:
	s_or_saveexec_b64 s[2:3], s[26:27]
	v_pk_mov_b32 v[0:1], s[30:31], s[30:31] op_sel:[0,1]
	v_pk_mov_b32 v[4:5], s[36:37], s[36:37] op_sel:[0,1]
	s_xor_b64 exec, exec, s[2:3]
; %bb.50:
	s_sub_u32 s4, 0, s8
	s_subb_u32 s5, 0, s9
	s_lshl_b64 s[6:7], s[20:21], 1
	v_pk_mov_b32 v[0:1], s[4:5], s[4:5] op_sel:[0,1]
	v_pk_mov_b32 v[4:5], s[6:7], s[6:7] op_sel:[0,1]
	s_or_b64 s[0:1], s[0:1], exec
; %bb.51:
	s_or_b64 exec, exec, s[2:3]
	s_and_b64 exec, exec, s[0:1]
	s_cbranch_execz .LBB42_64
; %bb.52:
	v_lshlrev_b64 v[6:7], 1, v[2:3]
	s_sub_u32 s26, 0, s18
	v_mov_b32_e32 v8, s15
	v_add_co_u32_e32 v6, vcc, s14, v6
	s_mov_b64 s[4:5], 0
	s_subb_u32 s27, 0, s19
	v_addc_co_u32_e32 v7, vcc, v8, v7, vcc
	v_mov_b32_e32 v8, 0
	s_ashr_i32 s6, s9, 31
	s_sub_i32 s28, 0, s8
	s_branch .LBB42_55
.LBB42_53:                              ;   in Loop: Header=BB42_55 Depth=1
	s_or_b64 exec, exec, s[0:1]
	v_ashrrev_i32_e32 v9, 31, v15
	v_and_b32_e32 v13, s23, v9
	v_and_b32_e32 v9, s22, v9
	v_add_co_u32_e32 v12, vcc, v9, v14
	v_addc_co_u32_e32 v13, vcc, v13, v15, vcc
	v_mov_b32_e32 v9, s23
	v_sub_co_u32_e32 v14, vcc, s22, v12
	v_subb_co_u32_e32 v9, vcc, v9, v13, vcc
	v_cmp_gt_i64_e32 vcc, s[16:17], v[12:13]
	v_cndmask_b32_e32 v13, v9, v13, vcc
	v_cndmask_b32_e32 v12, v14, v12, vcc
.LBB42_54:                              ;   in Loop: Header=BB42_55 Depth=1
	v_mul_lo_u32 v9, v11, s16
	v_mul_lo_u32 v14, v10, s17
	v_mad_u64_u32 v[10:11], s[0:1], v10, s16, 0
	v_add3_u32 v11, v11, v14, v9
	v_lshlrev_b64 v[10:11], 1, v[10:11]
	v_mov_b32_e32 v9, s13
	v_add_co_u32_e32 v14, vcc, s12, v10
	v_addc_co_u32_e32 v9, vcc, v9, v11, vcc
	v_lshlrev_b64 v[10:11], 1, v[12:13]
	v_add_co_u32_e32 v10, vcc, v14, v10
	v_addc_co_u32_e32 v11, vcc, v9, v11, vcc
	global_load_ushort v9, v[10:11], off
	v_mov_b32_e32 v10, s21
	v_add_co_u32_e32 v2, vcc, s20, v2
	v_addc_co_u32_e32 v3, vcc, v3, v10, vcc
	v_cmp_le_i64_e32 vcc, s[10:11], v[2:3]
	s_or_b64 s[4:5], vcc, s[4:5]
	s_waitcnt vmcnt(0)
	global_store_short v[6:7], v9, off
	v_add_co_u32_e32 v6, vcc, v6, v4
	v_addc_co_u32_e32 v7, vcc, v7, v5, vcc
	s_andn2_b64 exec, exec, s[4:5]
	s_cbranch_execz .LBB42_64
.LBB42_55:                              ; =>This Inner Loop Header: Depth=1
	v_or_b32_e32 v9, s9, v3
	v_cmp_ne_u64_e32 vcc, 0, v[8:9]
                                        ; implicit-def: $vgpr10_vgpr11
	s_and_saveexec_b64 s[0:1], vcc
	s_xor_b64 s[2:3], exec, s[0:1]
	s_cbranch_execnz .LBB42_58
; %bb.56:                               ;   in Loop: Header=BB42_55 Depth=1
	s_andn2_saveexec_b64 s[0:1], s[2:3]
	s_cbranch_execnz .LBB42_59
.LBB42_57:                              ;   in Loop: Header=BB42_55 Depth=1
	s_or_b64 exec, exec, s[0:1]
	s_andn2_b64 vcc, exec, s[24:25]
	v_pk_mov_b32 v[12:13], 0, 0
	s_cbranch_vccnz .LBB42_54
	s_branch .LBB42_60
.LBB42_58:                              ;   in Loop: Header=BB42_55 Depth=1
	s_add_u32 s0, s8, s6
	s_mov_b32 s7, s6
	s_addc_u32 s1, s9, s6
	s_xor_b64 s[14:15], s[0:1], s[6:7]
	v_cvt_f32_u32_e32 v9, s14
	v_cvt_f32_u32_e32 v10, s15
	s_sub_u32 s0, 0, s14
	s_subb_u32 s1, 0, s15
	v_mac_f32_e32 v9, 0x4f800000, v10
	v_rcp_f32_e32 v9, v9
	v_mul_f32_e32 v9, 0x5f7ffffc, v9
	v_mul_f32_e32 v10, 0x2f800000, v9
	v_trunc_f32_e32 v10, v10
	v_mac_f32_e32 v9, 0xcf800000, v10
	v_cvt_u32_f32_e32 v10, v10
	v_cvt_u32_f32_e32 v9, v9
	v_mul_lo_u32 v11, s0, v10
	v_mul_hi_u32 v13, s0, v9
	v_mul_lo_u32 v12, s1, v9
	v_add_u32_e32 v11, v13, v11
	v_mul_lo_u32 v14, s0, v9
	v_add_u32_e32 v11, v11, v12
	v_mul_lo_u32 v13, v9, v11
	v_mul_hi_u32 v15, v9, v14
	v_mul_hi_u32 v12, v9, v11
	v_add_co_u32_e32 v13, vcc, v15, v13
	v_addc_co_u32_e32 v12, vcc, 0, v12, vcc
	v_mul_hi_u32 v16, v10, v14
	v_mul_lo_u32 v14, v10, v14
	v_add_co_u32_e32 v13, vcc, v13, v14
	v_mul_hi_u32 v15, v10, v11
	v_addc_co_u32_e32 v12, vcc, v12, v16, vcc
	v_addc_co_u32_e32 v13, vcc, 0, v15, vcc
	v_mul_lo_u32 v11, v10, v11
	v_add_co_u32_e32 v11, vcc, v12, v11
	v_addc_co_u32_e32 v12, vcc, 0, v13, vcc
	v_add_co_u32_e32 v9, vcc, v9, v11
	v_addc_co_u32_e32 v10, vcc, v10, v12, vcc
	v_mul_lo_u32 v11, s0, v10
	v_mul_hi_u32 v12, s0, v9
	v_add_u32_e32 v11, v12, v11
	v_mul_lo_u32 v12, s1, v9
	v_add_u32_e32 v11, v11, v12
	v_mul_lo_u32 v13, s0, v9
	v_mul_hi_u32 v14, v10, v13
	v_mul_lo_u32 v15, v10, v13
	v_mul_lo_u32 v17, v9, v11
	v_mul_hi_u32 v13, v9, v13
	v_mul_hi_u32 v16, v9, v11
	v_add_co_u32_e32 v13, vcc, v13, v17
	v_addc_co_u32_e32 v16, vcc, 0, v16, vcc
	v_add_co_u32_e32 v13, vcc, v13, v15
	v_mul_hi_u32 v12, v10, v11
	v_addc_co_u32_e32 v13, vcc, v16, v14, vcc
	v_addc_co_u32_e32 v12, vcc, 0, v12, vcc
	v_mul_lo_u32 v11, v10, v11
	v_add_co_u32_e32 v11, vcc, v13, v11
	v_addc_co_u32_e32 v12, vcc, 0, v12, vcc
	v_add_co_u32_e32 v9, vcc, v9, v11
	v_addc_co_u32_e32 v12, vcc, v10, v12, vcc
	v_ashrrev_i32_e32 v14, 31, v3
	v_add_co_u32_e32 v10, vcc, v2, v14
	v_addc_co_u32_e32 v11, vcc, v3, v14, vcc
	v_xor_b32_e32 v16, v10, v14
	v_xor_b32_e32 v15, v11, v14
	v_mad_u64_u32 v[10:11], s[0:1], v16, v12, 0
	v_mul_hi_u32 v13, v16, v9
	v_add_co_u32_e32 v17, vcc, v13, v10
	v_addc_co_u32_e32 v18, vcc, 0, v11, vcc
	v_mad_u64_u32 v[10:11], s[0:1], v15, v12, 0
	v_mad_u64_u32 v[12:13], s[0:1], v15, v9, 0
	v_add_co_u32_e32 v9, vcc, v17, v12
	v_addc_co_u32_e32 v9, vcc, v18, v13, vcc
	v_addc_co_u32_e32 v11, vcc, 0, v11, vcc
	v_add_co_u32_e32 v9, vcc, v9, v10
	v_addc_co_u32_e32 v12, vcc, 0, v11, vcc
	v_mul_lo_u32 v13, s15, v9
	v_mul_lo_u32 v17, s14, v12
	v_mad_u64_u32 v[10:11], s[0:1], s14, v9, 0
	v_add3_u32 v11, v11, v17, v13
	v_sub_u32_e32 v13, v15, v11
	v_mov_b32_e32 v17, s15
	v_sub_co_u32_e32 v10, vcc, v16, v10
	v_subb_co_u32_e64 v13, s[0:1], v13, v17, vcc
	v_subrev_co_u32_e64 v16, s[0:1], s14, v10
	v_subbrev_co_u32_e64 v13, s[0:1], 0, v13, s[0:1]
	v_cmp_le_u32_e64 s[0:1], s15, v13
	v_cndmask_b32_e64 v17, 0, -1, s[0:1]
	v_cmp_le_u32_e64 s[0:1], s14, v16
	v_cndmask_b32_e64 v16, 0, -1, s[0:1]
	v_cmp_eq_u32_e64 s[0:1], s15, v13
	v_cndmask_b32_e64 v13, v17, v16, s[0:1]
	v_add_co_u32_e64 v16, s[0:1], 2, v9
	v_subb_co_u32_e32 v11, vcc, v15, v11, vcc
	v_addc_co_u32_e64 v17, s[0:1], 0, v12, s[0:1]
	v_cmp_le_u32_e32 vcc, s15, v11
	v_add_co_u32_e64 v18, s[0:1], 1, v9
	v_cndmask_b32_e64 v15, 0, -1, vcc
	v_cmp_le_u32_e32 vcc, s14, v10
	v_addc_co_u32_e64 v19, s[0:1], 0, v12, s[0:1]
	v_cndmask_b32_e64 v10, 0, -1, vcc
	v_cmp_eq_u32_e32 vcc, s15, v11
	v_cmp_ne_u32_e64 s[0:1], 0, v13
	v_cndmask_b32_e32 v10, v15, v10, vcc
	v_cmp_ne_u32_e32 vcc, 0, v10
	v_cndmask_b32_e64 v11, v18, v16, s[0:1]
	v_cndmask_b32_e64 v13, v19, v17, s[0:1]
	v_cndmask_b32_e32 v9, v9, v11, vcc
	v_xor_b32_e32 v11, s6, v14
	v_cndmask_b32_e32 v10, v12, v13, vcc
	v_xor_b32_e32 v9, v9, v11
	v_xor_b32_e32 v12, v10, v11
	v_sub_co_u32_e32 v10, vcc, v9, v11
	v_subb_co_u32_e32 v11, vcc, v12, v11, vcc
	s_andn2_saveexec_b64 s[0:1], s[2:3]
	s_cbranch_execz .LBB42_57
.LBB42_59:                              ;   in Loop: Header=BB42_55 Depth=1
	v_cvt_f32_u32_e32 v9, s8
	v_rcp_iflag_f32_e32 v9, v9
	v_mul_f32_e32 v9, 0x4f7ffffe, v9
	v_cvt_u32_f32_e32 v9, v9
	v_mul_lo_u32 v10, s28, v9
	v_mul_hi_u32 v10, v9, v10
	v_add_u32_e32 v9, v9, v10
	v_mul_hi_u32 v9, v2, v9
	v_mul_lo_u32 v10, v9, s8
	v_sub_u32_e32 v10, v2, v10
	v_add_u32_e32 v11, 1, v9
	v_subrev_u32_e32 v12, s8, v10
	v_cmp_le_u32_e32 vcc, s8, v10
	v_cndmask_b32_e32 v10, v10, v12, vcc
	v_cndmask_b32_e32 v9, v9, v11, vcc
	v_add_u32_e32 v11, 1, v9
	v_cmp_le_u32_e32 vcc, s8, v10
	v_cndmask_b32_e32 v10, v9, v11, vcc
	v_mov_b32_e32 v11, v8
	s_or_b64 exec, exec, s[0:1]
	s_andn2_b64 vcc, exec, s[24:25]
	v_pk_mov_b32 v[12:13], 0, 0
	s_cbranch_vccnz .LBB42_54
.LBB42_60:                              ;   in Loop: Header=BB42_55 Depth=1
	v_mov_b32_e32 v9, s27
	v_add_co_u32_e32 v12, vcc, s26, v2
	v_addc_co_u32_e32 v13, vcc, v9, v3, vcc
	v_mul_lo_u32 v9, v0, v11
	v_mul_lo_u32 v14, v1, v10
	v_mad_u64_u32 v[12:13], s[0:1], v0, v10, v[12:13]
	v_add3_u32 v13, v14, v13, v9
	v_or_b32_e32 v9, s23, v13
	v_cmp_ne_u64_e32 vcc, 0, v[8:9]
                                        ; implicit-def: $vgpr14_vgpr15
	s_and_saveexec_b64 s[0:1], vcc
	s_xor_b64 s[14:15], exec, s[0:1]
	s_cbranch_execz .LBB42_62
; %bb.61:                               ;   in Loop: Header=BB42_55 Depth=1
	s_ashr_i32 s0, s23, 31
	s_add_u32 s2, s22, s0
	s_mov_b32 s1, s0
	s_addc_u32 s3, s23, s0
	s_xor_b64 s[18:19], s[2:3], s[0:1]
	v_cvt_f32_u32_e32 v9, s18
	v_cvt_f32_u32_e32 v14, s19
	s_sub_u32 s0, 0, s18
	s_subb_u32 s1, 0, s19
	v_mac_f32_e32 v9, 0x4f800000, v14
	v_rcp_f32_e32 v9, v9
	v_mul_f32_e32 v9, 0x5f7ffffc, v9
	v_mul_f32_e32 v14, 0x2f800000, v9
	v_trunc_f32_e32 v14, v14
	v_mac_f32_e32 v9, 0xcf800000, v14
	v_cvt_u32_f32_e32 v14, v14
	v_cvt_u32_f32_e32 v9, v9
	v_mul_lo_u32 v15, s0, v14
	v_mul_hi_u32 v17, s0, v9
	v_mul_lo_u32 v16, s1, v9
	v_add_u32_e32 v15, v17, v15
	v_mul_lo_u32 v18, s0, v9
	v_add_u32_e32 v15, v15, v16
	v_mul_lo_u32 v17, v9, v15
	v_mul_hi_u32 v19, v9, v18
	v_mul_hi_u32 v16, v9, v15
	v_add_co_u32_e32 v17, vcc, v19, v17
	v_addc_co_u32_e32 v16, vcc, 0, v16, vcc
	v_mul_hi_u32 v20, v14, v18
	v_mul_lo_u32 v18, v14, v18
	v_add_co_u32_e32 v17, vcc, v17, v18
	v_mul_hi_u32 v19, v14, v15
	v_addc_co_u32_e32 v16, vcc, v16, v20, vcc
	v_addc_co_u32_e32 v17, vcc, 0, v19, vcc
	v_mul_lo_u32 v15, v14, v15
	v_add_co_u32_e32 v15, vcc, v16, v15
	v_addc_co_u32_e32 v16, vcc, 0, v17, vcc
	v_add_co_u32_e32 v9, vcc, v9, v15
	v_addc_co_u32_e32 v14, vcc, v14, v16, vcc
	v_mul_lo_u32 v15, s0, v14
	v_mul_hi_u32 v16, s0, v9
	v_add_u32_e32 v15, v16, v15
	v_mul_lo_u32 v16, s1, v9
	v_add_u32_e32 v15, v15, v16
	v_mul_lo_u32 v17, s0, v9
	v_mul_hi_u32 v18, v14, v17
	v_mul_lo_u32 v19, v14, v17
	v_mul_lo_u32 v21, v9, v15
	v_mul_hi_u32 v17, v9, v17
	v_mul_hi_u32 v20, v9, v15
	v_add_co_u32_e32 v17, vcc, v17, v21
	v_addc_co_u32_e32 v20, vcc, 0, v20, vcc
	v_add_co_u32_e32 v17, vcc, v17, v19
	v_mul_hi_u32 v16, v14, v15
	v_addc_co_u32_e32 v17, vcc, v20, v18, vcc
	v_addc_co_u32_e32 v16, vcc, 0, v16, vcc
	v_mul_lo_u32 v15, v14, v15
	v_add_co_u32_e32 v15, vcc, v17, v15
	v_addc_co_u32_e32 v16, vcc, 0, v16, vcc
	v_add_co_u32_e32 v9, vcc, v9, v15
	v_addc_co_u32_e32 v14, vcc, v14, v16, vcc
	v_ashrrev_i32_e32 v16, 31, v13
	v_add_co_u32_e32 v12, vcc, v12, v16
	v_addc_co_u32_e32 v13, vcc, v13, v16, vcc
	v_xor_b32_e32 v18, v12, v16
	v_xor_b32_e32 v17, v13, v16
	v_mad_u64_u32 v[12:13], s[0:1], v18, v14, 0
	v_mul_hi_u32 v15, v18, v9
	v_add_co_u32_e32 v19, vcc, v15, v12
	v_addc_co_u32_e32 v20, vcc, 0, v13, vcc
	v_mad_u64_u32 v[12:13], s[0:1], v17, v14, 0
	v_mad_u64_u32 v[14:15], s[0:1], v17, v9, 0
	v_add_co_u32_e32 v9, vcc, v19, v14
	v_addc_co_u32_e32 v9, vcc, v20, v15, vcc
	v_addc_co_u32_e32 v13, vcc, 0, v13, vcc
	v_add_co_u32_e32 v9, vcc, v9, v12
	v_addc_co_u32_e32 v12, vcc, 0, v13, vcc
	v_mul_lo_u32 v14, s19, v9
	v_mul_lo_u32 v15, s18, v12
	v_mad_u64_u32 v[12:13], s[0:1], s18, v9, 0
	v_add3_u32 v9, v13, v15, v14
	v_sub_u32_e32 v13, v17, v9
	v_mov_b32_e32 v14, s19
	v_sub_co_u32_e32 v12, vcc, v18, v12
	v_subb_co_u32_e64 v13, s[0:1], v13, v14, vcc
	v_subrev_co_u32_e64 v15, s[0:1], s18, v12
	v_subbrev_co_u32_e64 v18, s[2:3], 0, v13, s[0:1]
	v_cmp_le_u32_e64 s[2:3], s19, v18
	v_cndmask_b32_e64 v19, 0, -1, s[2:3]
	v_cmp_le_u32_e64 s[2:3], s18, v15
	v_subb_co_u32_e64 v13, s[0:1], v13, v14, s[0:1]
	v_cndmask_b32_e64 v20, 0, -1, s[2:3]
	v_cmp_eq_u32_e64 s[2:3], s19, v18
	v_subrev_co_u32_e64 v14, s[0:1], s18, v15
	v_subb_co_u32_e32 v9, vcc, v17, v9, vcc
	v_cndmask_b32_e64 v19, v19, v20, s[2:3]
	v_subbrev_co_u32_e64 v13, s[0:1], 0, v13, s[0:1]
	v_cmp_le_u32_e32 vcc, s19, v9
	v_cmp_ne_u32_e64 s[0:1], 0, v19
	v_cndmask_b32_e64 v17, 0, -1, vcc
	v_cmp_le_u32_e32 vcc, s18, v12
	v_cndmask_b32_e64 v13, v18, v13, s[0:1]
	v_cndmask_b32_e64 v18, 0, -1, vcc
	v_cmp_eq_u32_e32 vcc, s19, v9
	v_cndmask_b32_e32 v17, v17, v18, vcc
	v_cmp_ne_u32_e32 vcc, 0, v17
	v_cndmask_b32_e32 v9, v9, v13, vcc
	v_cndmask_b32_e64 v13, v15, v14, s[0:1]
	v_cndmask_b32_e32 v12, v12, v13, vcc
	v_xor_b32_e32 v12, v12, v16
	v_xor_b32_e32 v9, v9, v16
	v_sub_co_u32_e32 v14, vcc, v12, v16
	v_subb_co_u32_e32 v15, vcc, v9, v16, vcc
                                        ; implicit-def: $vgpr12_vgpr13
.LBB42_62:                              ;   in Loop: Header=BB42_55 Depth=1
	s_andn2_saveexec_b64 s[0:1], s[14:15]
	s_cbranch_execz .LBB42_53
; %bb.63:                               ;   in Loop: Header=BB42_55 Depth=1
	v_cvt_f32_u32_e32 v9, s22
	s_sub_i32 s2, 0, s22
	v_mov_b32_e32 v15, v8
	v_rcp_iflag_f32_e32 v9, v9
	v_mul_f32_e32 v9, 0x4f7ffffe, v9
	v_cvt_u32_f32_e32 v9, v9
	v_mul_lo_u32 v13, s2, v9
	v_mul_hi_u32 v13, v9, v13
	v_add_u32_e32 v9, v9, v13
	v_mul_hi_u32 v9, v12, v9
	v_mul_lo_u32 v9, v9, s22
	v_sub_u32_e32 v9, v12, v9
	v_subrev_u32_e32 v12, s22, v9
	v_cmp_le_u32_e32 vcc, s22, v9
	v_cndmask_b32_e32 v9, v9, v12, vcc
	v_subrev_u32_e32 v12, s22, v9
	v_cmp_le_u32_e32 vcc, s22, v9
	v_cndmask_b32_e32 v14, v9, v12, vcc
	s_branch .LBB42_53
.LBB42_64:
	s_endpgm
	.section	.rodata,"a",@progbits
	.p2align	6, 0x0
	.amdhsa_kernel _ZN2at6native12_GLOBAL__N_121reflection_pad1d_flatIN3c104HalfEEEvPKT_PS5_lllll
		.amdhsa_group_segment_fixed_size 0
		.amdhsa_private_segment_fixed_size 0
		.amdhsa_kernarg_size 312
		.amdhsa_user_sgpr_count 6
		.amdhsa_user_sgpr_private_segment_buffer 1
		.amdhsa_user_sgpr_dispatch_ptr 0
		.amdhsa_user_sgpr_queue_ptr 0
		.amdhsa_user_sgpr_kernarg_segment_ptr 1
		.amdhsa_user_sgpr_dispatch_id 0
		.amdhsa_user_sgpr_flat_scratch_init 0
		.amdhsa_user_sgpr_kernarg_preload_length 0
		.amdhsa_user_sgpr_kernarg_preload_offset 0
		.amdhsa_user_sgpr_private_segment_size 0
		.amdhsa_uses_dynamic_stack 0
		.amdhsa_system_sgpr_private_segment_wavefront_offset 0
		.amdhsa_system_sgpr_workgroup_id_x 1
		.amdhsa_system_sgpr_workgroup_id_y 0
		.amdhsa_system_sgpr_workgroup_id_z 0
		.amdhsa_system_sgpr_workgroup_info 0
		.amdhsa_system_vgpr_workitem_id 0
		.amdhsa_next_free_vgpr 52
		.amdhsa_next_free_sgpr 67
		.amdhsa_accum_offset 52
		.amdhsa_reserve_vcc 1
		.amdhsa_reserve_flat_scratch 0
		.amdhsa_float_round_mode_32 0
		.amdhsa_float_round_mode_16_64 0
		.amdhsa_float_denorm_mode_32 3
		.amdhsa_float_denorm_mode_16_64 3
		.amdhsa_dx10_clamp 1
		.amdhsa_ieee_mode 1
		.amdhsa_fp16_overflow 0
		.amdhsa_tg_split 0
		.amdhsa_exception_fp_ieee_invalid_op 0
		.amdhsa_exception_fp_denorm_src 0
		.amdhsa_exception_fp_ieee_div_zero 0
		.amdhsa_exception_fp_ieee_overflow 0
		.amdhsa_exception_fp_ieee_underflow 0
		.amdhsa_exception_fp_ieee_inexact 0
		.amdhsa_exception_int_div_zero 0
	.end_amdhsa_kernel
	.section	.text._ZN2at6native12_GLOBAL__N_121reflection_pad1d_flatIN3c104HalfEEEvPKT_PS5_lllll,"axG",@progbits,_ZN2at6native12_GLOBAL__N_121reflection_pad1d_flatIN3c104HalfEEEvPKT_PS5_lllll,comdat
.Lfunc_end42:
	.size	_ZN2at6native12_GLOBAL__N_121reflection_pad1d_flatIN3c104HalfEEEvPKT_PS5_lllll, .Lfunc_end42-_ZN2at6native12_GLOBAL__N_121reflection_pad1d_flatIN3c104HalfEEEvPKT_PS5_lllll
                                        ; -- End function
	.section	.AMDGPU.csdata,"",@progbits
; Kernel info:
; codeLenInByte = 10628
; NumSgprs: 71
; NumVgprs: 52
; NumAgprs: 0
; TotalNumVgprs: 52
; ScratchSize: 0
; MemoryBound: 0
; FloatMode: 240
; IeeeMode: 1
; LDSByteSize: 0 bytes/workgroup (compile time only)
; SGPRBlocks: 8
; VGPRBlocks: 6
; NumSGPRsForWavesPerEU: 71
; NumVGPRsForWavesPerEU: 52
; AccumOffset: 52
; Occupancy: 8
; WaveLimiterHint : 0
; COMPUTE_PGM_RSRC2:SCRATCH_EN: 0
; COMPUTE_PGM_RSRC2:USER_SGPR: 6
; COMPUTE_PGM_RSRC2:TRAP_HANDLER: 0
; COMPUTE_PGM_RSRC2:TGID_X_EN: 1
; COMPUTE_PGM_RSRC2:TGID_Y_EN: 0
; COMPUTE_PGM_RSRC2:TGID_Z_EN: 0
; COMPUTE_PGM_RSRC2:TIDIG_COMP_CNT: 0
; COMPUTE_PGM_RSRC3_GFX90A:ACCUM_OFFSET: 12
; COMPUTE_PGM_RSRC3_GFX90A:TG_SPLIT: 0
	.section	.text._ZN2at6native12_GLOBAL__N_127reflection_pad1d_out_kernelIN3c108BFloat16EEEvPKT_PS5_lll,"axG",@progbits,_ZN2at6native12_GLOBAL__N_127reflection_pad1d_out_kernelIN3c108BFloat16EEEvPKT_PS5_lll,comdat
	.globl	_ZN2at6native12_GLOBAL__N_127reflection_pad1d_out_kernelIN3c108BFloat16EEEvPKT_PS5_lll ; -- Begin function _ZN2at6native12_GLOBAL__N_127reflection_pad1d_out_kernelIN3c108BFloat16EEEvPKT_PS5_lll
	.p2align	8
	.type	_ZN2at6native12_GLOBAL__N_127reflection_pad1d_out_kernelIN3c108BFloat16EEEvPKT_PS5_lll,@function
_ZN2at6native12_GLOBAL__N_127reflection_pad1d_out_kernelIN3c108BFloat16EEEvPKT_PS5_lll: ; @_ZN2at6native12_GLOBAL__N_127reflection_pad1d_out_kernelIN3c108BFloat16EEEvPKT_PS5_lll
; %bb.0:
	s_load_dword s9, s[4:5], 0x34
	s_load_dwordx2 s[0:1], s[4:5], 0x20
	s_load_dwordx8 s[12:19], s[4:5], 0x0
	s_add_u32 s2, s4, 40
	s_addc_u32 s3, s5, 0
	s_waitcnt lgkmcnt(0)
	s_and_b32 s4, s9, 0xffff
	v_mov_b32_e32 v1, 0
	v_mov_b32_e32 v2, s6
	v_mad_u64_u32 v[0:1], s[4:5], s4, v2, v[0:1]
	s_add_u32 s4, s18, s16
	s_addc_u32 s5, s19, s17
	s_add_u32 s0, s4, s0
	s_addc_u32 s1, s5, s1
	v_cmp_gt_i64_e32 vcc, s[0:1], v[0:1]
	s_and_saveexec_b64 s[10:11], vcc
	s_cbranch_execz .LBB43_2
; %bb.1:
	s_load_dword s6, s[2:3], 0x4
	s_sub_u32 s2, 0, s18
	v_mov_b32_e32 v2, s19
	v_subrev_co_u32_e32 v3, vcc, s18, v0
	s_waitcnt lgkmcnt(0)
	s_mul_i32 s6, s6, s8
	s_subb_u32 s3, 0, s19
	s_add_i32 s10, s6, s7
	v_subb_co_u32_e32 v2, vcc, v1, v2, vcc
	s_mul_i32 s7, s10, s17
	s_mul_hi_u32 s8, s10, s16
	v_ashrrev_i32_e32 v4, 31, v2
	s_add_i32 s7, s8, s7
	s_mul_i32 s1, s1, s10
	s_mul_hi_u32 s8, s0, s10
	v_xor_b32_e32 v5, v2, v4
	v_xor_b32_e32 v2, v3, v4
	s_add_i32 s1, s8, s1
	v_cmp_gt_i64_e64 s[8:9], s[2:3], 0
	v_sub_co_u32_e32 v2, vcc, v2, v4
	s_and_b64 s[8:9], s[8:9], exec
	v_subb_co_u32_e32 v3, vcc, v5, v4, vcc
	s_cselect_b32 s8, s3, 0
	s_cselect_b32 s9, s2, 0
	v_cmp_gt_i64_e64 s[2:3], s[18:19], 0
	v_mov_b32_e32 v4, s5
	v_subrev_co_u32_e32 v5, vcc, s4, v0
	s_and_b64 s[2:3], s[2:3], exec
	v_subb_co_u32_e32 v4, vcc, v1, v4, vcc
	s_cselect_b32 s3, s19, 0
	s_cselect_b32 s2, s18, 0
	v_add_co_u32_e32 v5, vcc, 1, v5
	v_addc_co_u32_e32 v4, vcc, 0, v4, vcc
	s_not_b64 s[2:3], s[2:3]
	v_ashrrev_i32_e32 v6, 31, v4
	s_add_u32 s4, s4, s18
	v_xor_b32_e32 v5, v5, v6
	s_addc_u32 s5, s5, s19
	v_xor_b32_e32 v4, v4, v6
	v_sub_co_u32_e32 v5, vcc, v5, v6
	s_add_u32 s2, s4, s2
	v_subb_co_u32_e32 v4, vcc, v4, v6, vcc
	s_addc_u32 s3, s5, s3
	s_add_u32 s2, s2, s9
	v_add_co_u32_e32 v5, vcc, v0, v5
	s_addc_u32 s3, s3, s8
	v_addc_co_u32_e32 v6, vcc, v1, v4, vcc
	v_mov_b32_e32 v7, s3
	v_sub_co_u32_e32 v4, vcc, s2, v5
	v_subb_co_u32_e32 v5, vcc, v7, v6, vcc
	v_lshlrev_b64 v[4:5], 1, v[4:5]
	v_mov_b32_e32 v6, s13
	v_add_co_u32_e32 v4, vcc, s12, v4
	v_addc_co_u32_e32 v5, vcc, v6, v5, vcc
	v_lshlrev_b64 v[2:3], 1, v[2:3]
	s_mul_i32 s6, s10, s16
	v_add_co_u32_e32 v2, vcc, v4, v2
	v_addc_co_u32_e32 v3, vcc, v5, v3, vcc
	s_lshl_b64 s[2:3], s[6:7], 1
	v_mov_b32_e32 v4, s3
	v_add_co_u32_e32 v2, vcc, s2, v2
	v_addc_co_u32_e32 v3, vcc, v3, v4, vcc
	global_load_ushort v2, v[2:3], off
	s_mul_i32 s0, s0, s10
	s_lshl_b64 s[0:1], s[0:1], 1
	s_add_u32 s0, s14, s0
	s_addc_u32 s1, s15, s1
	v_lshlrev_b64 v[0:1], 1, v[0:1]
	v_mov_b32_e32 v3, s1
	v_add_co_u32_e32 v0, vcc, s0, v0
	v_addc_co_u32_e32 v1, vcc, v3, v1, vcc
	s_waitcnt vmcnt(0)
	global_store_short v[0:1], v2, off
.LBB43_2:
	s_endpgm
	.section	.rodata,"a",@progbits
	.p2align	6, 0x0
	.amdhsa_kernel _ZN2at6native12_GLOBAL__N_127reflection_pad1d_out_kernelIN3c108BFloat16EEEvPKT_PS5_lll
		.amdhsa_group_segment_fixed_size 0
		.amdhsa_private_segment_fixed_size 0
		.amdhsa_kernarg_size 296
		.amdhsa_user_sgpr_count 6
		.amdhsa_user_sgpr_private_segment_buffer 1
		.amdhsa_user_sgpr_dispatch_ptr 0
		.amdhsa_user_sgpr_queue_ptr 0
		.amdhsa_user_sgpr_kernarg_segment_ptr 1
		.amdhsa_user_sgpr_dispatch_id 0
		.amdhsa_user_sgpr_flat_scratch_init 0
		.amdhsa_user_sgpr_kernarg_preload_length 0
		.amdhsa_user_sgpr_kernarg_preload_offset 0
		.amdhsa_user_sgpr_private_segment_size 0
		.amdhsa_uses_dynamic_stack 0
		.amdhsa_system_sgpr_private_segment_wavefront_offset 0
		.amdhsa_system_sgpr_workgroup_id_x 1
		.amdhsa_system_sgpr_workgroup_id_y 1
		.amdhsa_system_sgpr_workgroup_id_z 1
		.amdhsa_system_sgpr_workgroup_info 0
		.amdhsa_system_vgpr_workitem_id 0
		.amdhsa_next_free_vgpr 8
		.amdhsa_next_free_sgpr 20
		.amdhsa_accum_offset 8
		.amdhsa_reserve_vcc 1
		.amdhsa_reserve_flat_scratch 0
		.amdhsa_float_round_mode_32 0
		.amdhsa_float_round_mode_16_64 0
		.amdhsa_float_denorm_mode_32 3
		.amdhsa_float_denorm_mode_16_64 3
		.amdhsa_dx10_clamp 1
		.amdhsa_ieee_mode 1
		.amdhsa_fp16_overflow 0
		.amdhsa_tg_split 0
		.amdhsa_exception_fp_ieee_invalid_op 0
		.amdhsa_exception_fp_denorm_src 0
		.amdhsa_exception_fp_ieee_div_zero 0
		.amdhsa_exception_fp_ieee_overflow 0
		.amdhsa_exception_fp_ieee_underflow 0
		.amdhsa_exception_fp_ieee_inexact 0
		.amdhsa_exception_int_div_zero 0
	.end_amdhsa_kernel
	.section	.text._ZN2at6native12_GLOBAL__N_127reflection_pad1d_out_kernelIN3c108BFloat16EEEvPKT_PS5_lll,"axG",@progbits,_ZN2at6native12_GLOBAL__N_127reflection_pad1d_out_kernelIN3c108BFloat16EEEvPKT_PS5_lll,comdat
.Lfunc_end43:
	.size	_ZN2at6native12_GLOBAL__N_127reflection_pad1d_out_kernelIN3c108BFloat16EEEvPKT_PS5_lll, .Lfunc_end43-_ZN2at6native12_GLOBAL__N_127reflection_pad1d_out_kernelIN3c108BFloat16EEEvPKT_PS5_lll
                                        ; -- End function
	.section	.AMDGPU.csdata,"",@progbits
; Kernel info:
; codeLenInByte = 416
; NumSgprs: 24
; NumVgprs: 8
; NumAgprs: 0
; TotalNumVgprs: 8
; ScratchSize: 0
; MemoryBound: 0
; FloatMode: 240
; IeeeMode: 1
; LDSByteSize: 0 bytes/workgroup (compile time only)
; SGPRBlocks: 2
; VGPRBlocks: 0
; NumSGPRsForWavesPerEU: 24
; NumVGPRsForWavesPerEU: 8
; AccumOffset: 8
; Occupancy: 8
; WaveLimiterHint : 0
; COMPUTE_PGM_RSRC2:SCRATCH_EN: 0
; COMPUTE_PGM_RSRC2:USER_SGPR: 6
; COMPUTE_PGM_RSRC2:TRAP_HANDLER: 0
; COMPUTE_PGM_RSRC2:TGID_X_EN: 1
; COMPUTE_PGM_RSRC2:TGID_Y_EN: 1
; COMPUTE_PGM_RSRC2:TGID_Z_EN: 1
; COMPUTE_PGM_RSRC2:TIDIG_COMP_CNT: 0
; COMPUTE_PGM_RSRC3_GFX90A:ACCUM_OFFSET: 1
; COMPUTE_PGM_RSRC3_GFX90A:TG_SPLIT: 0
	.section	.text._ZN2at6native12_GLOBAL__N_121reflection_pad1d_flatIN3c108BFloat16EEEvPKT_PS5_lllll,"axG",@progbits,_ZN2at6native12_GLOBAL__N_121reflection_pad1d_flatIN3c108BFloat16EEEvPKT_PS5_lllll,comdat
	.globl	_ZN2at6native12_GLOBAL__N_121reflection_pad1d_flatIN3c108BFloat16EEEvPKT_PS5_lllll ; -- Begin function _ZN2at6native12_GLOBAL__N_121reflection_pad1d_flatIN3c108BFloat16EEEvPKT_PS5_lllll
	.p2align	8
	.type	_ZN2at6native12_GLOBAL__N_121reflection_pad1d_flatIN3c108BFloat16EEEvPKT_PS5_lllll,@function
_ZN2at6native12_GLOBAL__N_121reflection_pad1d_flatIN3c108BFloat16EEEvPKT_PS5_lllll: ; @_ZN2at6native12_GLOBAL__N_121reflection_pad1d_flatIN3c108BFloat16EEEvPKT_PS5_lllll
; %bb.0:
	s_load_dword s2, s[4:5], 0x44
	s_load_dwordx4 s[8:11], s[4:5], 0x28
	s_add_u32 s0, s4, 56
	s_addc_u32 s1, s5, 0
	v_mov_b32_e32 v1, 0
	s_waitcnt lgkmcnt(0)
	s_and_b32 s7, s2, 0xffff
	s_mul_i32 s2, s10, s9
	s_mul_hi_u32 s12, s10, s8
	s_add_i32 s2, s12, s2
	s_mul_i32 s11, s11, s8
	v_mov_b32_e32 v2, s6
	s_add_i32 s11, s2, s11
	s_mul_i32 s10, s10, s8
	v_mad_u64_u32 v[2:3], s[12:13], s7, v2, v[0:1]
	s_mov_b32 s3, 0
	v_cmp_gt_i64_e32 vcc, s[10:11], v[2:3]
	s_and_saveexec_b64 s[12:13], vcc
	s_cbranch_execz .LBB44_64
; %bb.1:
	s_load_dword s2, s[0:1], 0x0
	v_mov_b32_e32 v4, s7
	s_waitcnt lgkmcnt(0)
	s_add_u32 s0, s6, s2
	s_addc_u32 s1, 0, 0
	s_mul_i32 s12, s1, s7
	v_mad_u64_u32 v[10:11], s[0:1], s0, v4, v[0:1]
	v_add_u32_e32 v11, s12, v11
	v_mov_b32_e32 v4, s11
	v_cmp_gt_i64_e32 vcc, s[10:11], v[10:11]
	v_cndmask_b32_e32 v6, v11, v4, vcc
	v_mov_b32_e32 v4, s10
	v_cndmask_b32_e32 v5, v10, v4, vcc
	v_cndmask_b32_e64 v4, 0, 1, vcc
	v_add_co_u32_e32 v7, vcc, v10, v4
	v_addc_co_u32_e32 v8, vcc, 0, v11, vcc
	v_sub_co_u32_e32 v5, vcc, v5, v7
	s_mul_hi_u32 s21, s7, s2
	v_subb_co_u32_e32 v8, vcc, v6, v8, vcc
	v_or_b32_e32 v7, s21, v8
	v_mov_b32_e32 v6, v1
	s_mul_i32 s20, s7, s2
	v_cmp_ne_u64_e32 vcc, 0, v[6:7]
                                        ; implicit-def: $vgpr6_vgpr7
	s_and_saveexec_b64 s[0:1], vcc
	s_xor_b64 s[12:13], exec, s[0:1]
	s_cbranch_execz .LBB44_3
; %bb.2:
	v_cvt_f32_u32_e32 v6, s20
	v_cvt_f32_u32_e32 v7, s21
	s_sub_u32 s0, 0, s20
	s_subb_u32 s1, 0, s21
	v_madmk_f32 v6, v7, 0x4f800000, v6
	v_rcp_f32_e32 v6, v6
	v_mul_f32_e32 v6, 0x5f7ffffc, v6
	v_mul_f32_e32 v7, 0x2f800000, v6
	v_trunc_f32_e32 v7, v7
	v_madmk_f32 v6, v7, 0xcf800000, v6
	v_cvt_u32_f32_e32 v7, v7
	v_cvt_u32_f32_e32 v6, v6
	v_mul_lo_u32 v9, s0, v7
	v_mul_hi_u32 v13, s0, v6
	v_mul_lo_u32 v12, s1, v6
	v_add_u32_e32 v9, v13, v9
	v_mul_lo_u32 v14, s0, v6
	v_add_u32_e32 v9, v9, v12
	v_mul_hi_u32 v13, v6, v14
	v_mul_lo_u32 v15, v6, v9
	v_mul_hi_u32 v12, v6, v9
	v_add_co_u32_e32 v13, vcc, v13, v15
	v_addc_co_u32_e32 v12, vcc, 0, v12, vcc
	v_mul_hi_u32 v16, v7, v14
	v_mul_lo_u32 v14, v7, v14
	v_add_co_u32_e32 v13, vcc, v13, v14
	v_mul_hi_u32 v15, v7, v9
	v_addc_co_u32_e32 v12, vcc, v12, v16, vcc
	v_addc_co_u32_e32 v13, vcc, 0, v15, vcc
	v_mul_lo_u32 v9, v7, v9
	v_add_co_u32_e32 v9, vcc, v12, v9
	v_addc_co_u32_e32 v12, vcc, 0, v13, vcc
	v_add_co_u32_e32 v6, vcc, v6, v9
	v_addc_co_u32_e32 v7, vcc, v7, v12, vcc
	v_mul_lo_u32 v9, s0, v7
	v_mul_hi_u32 v12, s0, v6
	v_add_u32_e32 v9, v12, v9
	v_mul_lo_u32 v12, s1, v6
	v_add_u32_e32 v9, v9, v12
	v_mul_lo_u32 v13, s0, v6
	v_mul_hi_u32 v14, v7, v13
	v_mul_lo_u32 v15, v7, v13
	v_mul_lo_u32 v17, v6, v9
	v_mul_hi_u32 v13, v6, v13
	v_mul_hi_u32 v16, v6, v9
	v_add_co_u32_e32 v13, vcc, v13, v17
	v_addc_co_u32_e32 v16, vcc, 0, v16, vcc
	v_add_co_u32_e32 v13, vcc, v13, v15
	v_mul_hi_u32 v12, v7, v9
	v_addc_co_u32_e32 v13, vcc, v16, v14, vcc
	v_addc_co_u32_e32 v12, vcc, 0, v12, vcc
	v_mul_lo_u32 v9, v7, v9
	v_add_co_u32_e32 v9, vcc, v13, v9
	v_addc_co_u32_e32 v12, vcc, 0, v12, vcc
	v_add_co_u32_e32 v9, vcc, v6, v9
	v_addc_co_u32_e32 v12, vcc, v7, v12, vcc
	v_mad_u64_u32 v[6:7], s[0:1], v5, v12, 0
	v_mul_hi_u32 v13, v5, v9
	v_add_co_u32_e32 v14, vcc, v13, v6
	v_addc_co_u32_e32 v15, vcc, 0, v7, vcc
	v_mad_u64_u32 v[6:7], s[0:1], v8, v12, 0
	v_mad_u64_u32 v[12:13], s[0:1], v8, v9, 0
	v_add_co_u32_e32 v9, vcc, v14, v12
	v_addc_co_u32_e32 v9, vcc, v15, v13, vcc
	v_addc_co_u32_e32 v7, vcc, 0, v7, vcc
	v_add_co_u32_e32 v9, vcc, v9, v6
	v_addc_co_u32_e32 v12, vcc, 0, v7, vcc
	v_mul_lo_u32 v13, s21, v9
	v_mul_lo_u32 v14, s20, v12
	v_mad_u64_u32 v[6:7], s[0:1], s20, v9, 0
	v_add3_u32 v7, v7, v14, v13
	v_sub_u32_e32 v13, v8, v7
	v_mov_b32_e32 v14, s21
	v_sub_co_u32_e32 v5, vcc, v5, v6
	v_subb_co_u32_e64 v6, s[0:1], v13, v14, vcc
	v_subrev_co_u32_e64 v13, s[0:1], s20, v5
	v_subbrev_co_u32_e64 v6, s[0:1], 0, v6, s[0:1]
	v_cmp_le_u32_e64 s[0:1], s21, v6
	v_cndmask_b32_e64 v14, 0, -1, s[0:1]
	v_cmp_le_u32_e64 s[0:1], s20, v13
	v_cndmask_b32_e64 v13, 0, -1, s[0:1]
	v_cmp_eq_u32_e64 s[0:1], s21, v6
	v_cndmask_b32_e64 v6, v14, v13, s[0:1]
	v_add_co_u32_e64 v13, s[0:1], 2, v9
	v_subb_co_u32_e32 v7, vcc, v8, v7, vcc
	v_addc_co_u32_e64 v14, s[0:1], 0, v12, s[0:1]
	v_cmp_le_u32_e32 vcc, s21, v7
	v_add_co_u32_e64 v15, s[0:1], 1, v9
	v_cndmask_b32_e64 v8, 0, -1, vcc
	v_cmp_le_u32_e32 vcc, s20, v5
	v_addc_co_u32_e64 v16, s[0:1], 0, v12, s[0:1]
	v_cndmask_b32_e64 v5, 0, -1, vcc
	v_cmp_eq_u32_e32 vcc, s21, v7
	v_cmp_ne_u32_e64 s[0:1], 0, v6
	v_cndmask_b32_e32 v5, v8, v5, vcc
	v_cndmask_b32_e64 v6, v16, v14, s[0:1]
	v_cmp_ne_u32_e32 vcc, 0, v5
	v_cndmask_b32_e64 v5, v15, v13, s[0:1]
	v_cndmask_b32_e32 v7, v12, v6, vcc
	v_cndmask_b32_e32 v6, v9, v5, vcc
                                        ; implicit-def: $vgpr5
.LBB44_3:
	s_or_saveexec_b64 s[0:1], s[12:13]
	s_load_dwordx4 s[12:15], s[4:5], 0x0
	s_xor_b64 exec, exec, s[0:1]
	s_cbranch_execz .LBB44_5
; %bb.4:
	v_cvt_f32_u32_e32 v6, s20
	s_sub_i32 s16, 0, s20
	v_rcp_iflag_f32_e32 v6, v6
	v_mul_f32_e32 v6, 0x4f7ffffe, v6
	v_cvt_u32_f32_e32 v6, v6
	v_mul_lo_u32 v7, s16, v6
	v_mul_hi_u32 v7, v6, v7
	v_add_u32_e32 v6, v6, v7
	v_mul_hi_u32 v6, v5, v6
	v_mul_lo_u32 v7, v6, s20
	v_sub_u32_e32 v5, v5, v7
	v_add_u32_e32 v8, 1, v6
	v_subrev_u32_e32 v7, s20, v5
	v_cmp_le_u32_e32 vcc, s20, v5
	v_cndmask_b32_e32 v5, v5, v7, vcc
	v_cndmask_b32_e32 v6, v6, v8, vcc
	v_add_u32_e32 v7, 1, v6
	v_cmp_le_u32_e32 vcc, s20, v5
	v_cndmask_b32_e32 v6, v6, v7, vcc
	v_mov_b32_e32 v7, 0
.LBB44_5:
	s_or_b64 exec, exec, s[0:1]
	s_load_dwordx4 s[16:19], s[4:5], 0x10
	v_add_co_u32_e32 v4, vcc, v6, v4
	v_addc_co_u32_e32 v5, vcc, 0, v7, vcc
	s_waitcnt lgkmcnt(0)
	s_lshl_b64 s[4:5], s[16:17], 1
	s_add_u32 s22, s4, -2
	v_add_co_u32_e32 v20, vcc, 1, v4
	s_addc_u32 s23, s5, -1
	v_addc_co_u32_e32 v21, vcc, 0, v5, vcc
	s_mov_b64 s[0:1], 0
	v_cmp_lt_i64_e64 s[28:29], s[22:23], 1
	v_cmp_gt_i64_e64 s[24:25], s[22:23], 0
	v_cmp_lt_u64_e32 vcc, 3, v[20:21]
                                        ; kill: def $vgpr4_vgpr5 killed $sgpr0_sgpr1 killed $exec
                                        ; implicit-def: $sgpr30_sgpr31
                                        ; implicit-def: $sgpr36_sgpr37
	s_and_saveexec_b64 s[4:5], vcc
	s_xor_b64 s[26:27], exec, s[4:5]
	s_cbranch_execz .LBB44_49
; %bb.6:
	v_mad_u64_u32 v[8:9], s[0:1], s20, 3, v[2:3]
	v_mov_b32_e32 v12, v9
	v_mad_u64_u32 v[6:7], s[0:1], s20, 2, v[2:3]
	v_mad_u64_u32 v[4:5], s[0:1], s20, 1, v[2:3]
	;; [unrolled: 1-line block ×3, first 2 shown]
	s_lshl_b64 s[34:35], s[20:21], 2
	s_xor_b64 s[48:49], s[28:29], -1
	v_mov_b32_e32 v9, v12
	s_sub_u32 s30, 0, s8
	v_mov_b32_e32 v12, s19
	v_subrev_co_u32_e32 v24, vcc, s18, v2
	s_mul_i32 s0, s21, 6
	s_mul_hi_u32 s1, s20, 6
	s_subb_u32 s31, 0, s9
	v_subb_co_u32_e32 v25, vcc, v3, v12, vcc
	s_add_i32 s65, s1, s0
	v_lshlrev_b64 v[12:13], 1, v[2:3]
	s_lshl_b64 s[50:51], s[20:21], 3
	s_lshl_b64 s[36:37], s[20:21], 1
	;; [unrolled: 1-line block ×3, first 2 shown]
	v_mov_b32_e32 v14, s15
	v_add_co_u32_e32 v26, vcc, s14, v12
	s_add_u32 s0, s0, s6
	v_addc_co_u32_e32 v27, vcc, v14, v13, vcc
	s_addc_u32 s1, s1, 0
	v_mov_b32_e32 v14, s7
	s_mul_i32 s3, s1, s7
	v_mad_u64_u32 v[12:13], s[0:1], s0, v14, v[0:1]
	s_mul_i32 s1, s2, 3
	s_mul_hi_u32 s0, s2, 3
	s_add_u32 s1, s1, s6
	v_add_u32_e32 v13, s3, v13
	v_mov_b32_e32 v15, s19
	v_subrev_co_u32_e32 v28, vcc, s18, v12
	s_addc_u32 s0, s0, 0
	v_subb_co_u32_e32 v29, vcc, v13, v15, vcc
	s_mul_i32 s2, s0, s7
	v_mad_u64_u32 v[0:1], s[0:1], s1, v14, v[0:1]
	v_add_u32_e32 v1, s2, v1
	v_mov_b32_e32 v12, s19
	v_subrev_co_u32_e32 v0, vcc, s18, v0
	v_subb_co_u32_e32 v1, vcc, v1, v12, vcc
	v_lshl_add_u32 v7, s21, 1, v7
	v_add_u32_e32 v5, s21, v5
	v_subrev_co_u32_e32 v30, vcc, s18, v10
	v_and_b32_e32 v22, -4, v20
	v_mov_b32_e32 v23, v21
	v_subb_co_u32_e32 v31, vcc, v11, v12, vcc
	v_pk_mov_b32 v[10:11], v[8:9], v[8:9] op_sel:[0,1]
	s_mov_b32 s33, s34
	s_mov_b32 s54, s35
	;; [unrolled: 1-line block ×20, first 2 shown]
	s_mov_b64 s[46:47], 0
	s_mul_i32 s66, s20, 6
	v_mov_b32_e32 v32, 0
	v_pk_mov_b32 v[34:35], v[22:23], v[22:23] op_sel:[0,1]
	v_pk_mov_b32 v[8:9], v[6:7], v[6:7] op_sel:[0,1]
	;; [unrolled: 1-line block ×4, first 2 shown]
	s_branch .LBB44_9
.LBB44_7:                               ;   in Loop: Header=BB44_9 Depth=1
	s_or_b64 exec, exec, s[0:1]
.LBB44_8:                               ;   in Loop: Header=BB44_9 Depth=1
	v_ashrrev_i32_e32 v49, 31, v13
	v_and_b32_e32 v50, s23, v49
	v_and_b32_e32 v49, s22, v49
	v_ashrrev_i32_e32 v47, 31, v15
	v_add_co_u32_e32 v12, vcc, v49, v12
	v_and_b32_e32 v48, s60, v47
	v_and_b32_e32 v47, s59, v47
	v_addc_co_u32_e32 v13, vcc, v50, v13, vcc
	v_ashrrev_i32_e32 v45, 31, v17
	v_add_co_u32_e32 v14, vcc, v47, v14
	v_and_b32_e32 v46, s62, v45
	v_and_b32_e32 v45, s61, v45
	v_addc_co_u32_e32 v15, vcc, v48, v15, vcc
	;; [unrolled: 5-line block ×3, first 2 shown]
	v_add_co_u32_e32 v18, vcc, v33, v18
	v_addc_co_u32_e32 v19, vcc, v44, v19, vcc
	v_mov_b32_e32 v33, s64
	v_sub_co_u32_e32 v44, vcc, s63, v18
	v_subb_co_u32_e32 v33, vcc, v33, v19, vcc
	v_mov_b32_e32 v45, s62
	v_sub_co_u32_e32 v46, vcc, s61, v16
	v_subb_co_u32_e32 v45, vcc, v45, v17, vcc
	;; [unrolled: 3-line block ×4, first 2 shown]
	v_cmp_gt_i64_e32 vcc, s[38:39], v[12:13]
	v_cndmask_b32_e32 v50, v50, v12, vcc
	v_cndmask_b32_e32 v49, v49, v13, vcc
	v_cmp_gt_i64_e32 vcc, s[40:41], v[14:15]
	v_cndmask_b32_e32 v48, v48, v14, vcc
	v_cndmask_b32_e32 v47, v47, v15, vcc
	;; [unrolled: 3-line block ×4, first 2 shown]
	v_mul_lo_u32 v33, v43, s44
	v_mul_lo_u32 v44, v42, s45
	v_mad_u64_u32 v[42:43], s[0:1], v42, s44, 0
	v_add3_u32 v43, v43, v44, v33
	v_mul_lo_u32 v33, v41, s42
	v_mul_lo_u32 v44, v40, s43
	v_mad_u64_u32 v[40:41], s[0:1], v40, s42, 0
	v_add3_u32 v41, v41, v44, v33
	;; [unrolled: 4-line block ×4, first 2 shown]
	v_lshlrev_b64 v[36:37], 1, v[36:37]
	v_mov_b32_e32 v33, s13
	v_add_co_u32_e32 v44, vcc, s12, v36
	v_addc_co_u32_e32 v45, vcc, v33, v37, vcc
	v_lshlrev_b64 v[36:37], 1, v[38:39]
	v_add_co_u32_e32 v38, vcc, s12, v36
	v_addc_co_u32_e32 v39, vcc, v33, v37, vcc
	v_lshlrev_b64 v[36:37], 1, v[40:41]
	;; [unrolled: 3-line block ×3, first 2 shown]
	v_cndmask_b32_e64 v19, v49, 0, s[28:29]
	v_cndmask_b32_e64 v18, v50, 0, s[28:29]
	v_add_co_u32_e32 v36, vcc, s12, v36
	v_addc_co_u32_e32 v33, vcc, v33, v37, vcc
	v_lshlrev_b64 v[18:19], 1, v[18:19]
	v_cndmask_b32_e64 v17, v47, 0, s[28:29]
	v_cndmask_b32_e64 v16, v48, 0, s[28:29]
	v_add_co_u32_e32 v18, vcc, v44, v18
	v_addc_co_u32_e32 v19, vcc, v45, v19, vcc
	v_lshlrev_b64 v[16:17], 1, v[16:17]
	;; [unrolled: 5-line block ×4, first 2 shown]
	v_add_co_u32_e32 v12, vcc, v36, v12
	v_addc_co_u32_e32 v13, vcc, v33, v13, vcc
	global_load_ushort v18, v[18:19], off
	s_nop 0
	global_load_ushort v19, v[16:17], off
	global_load_ushort v33, v[14:15], off
	;; [unrolled: 1-line block ×3, first 2 shown]
	v_mov_b32_e32 v13, s37
	v_add_co_u32_e32 v12, vcc, s36, v26
	v_addc_co_u32_e32 v13, vcc, v27, v13, vcc
	v_mov_b32_e32 v37, s35
	v_add_co_u32_e32 v14, vcc, s34, v26
	v_addc_co_u32_e32 v15, vcc, v27, v37, vcc
	;; [unrolled: 3-line block ×3, first 2 shown]
	s_waitcnt vmcnt(3)
	global_store_short v[26:27], v18, off
	s_waitcnt vmcnt(3)
	global_store_short v[12:13], v19, off
	;; [unrolled: 2-line block ×4, first 2 shown]
	v_mov_b32_e32 v12, s58
	v_add_co_u32_e32 v10, vcc, s57, v10
	v_addc_co_u32_e32 v11, vcc, v11, v12, vcc
	v_mov_b32_e32 v12, s56
	v_add_co_u32_e32 v8, vcc, s55, v8
	v_addc_co_u32_e32 v9, vcc, v9, v12, vcc
	;; [unrolled: 3-line block ×4, first 2 shown]
	v_add_co_u32_e32 v34, vcc, -4, v34
	v_addc_co_u32_e32 v35, vcc, -1, v35, vcc
	v_add_co_u32_e32 v24, vcc, s34, v24
	v_addc_co_u32_e32 v25, vcc, v25, v37, vcc
	v_mov_b32_e32 v12, s51
	v_add_co_u32_e32 v26, vcc, s50, v26
	v_addc_co_u32_e32 v27, vcc, v27, v12, vcc
	v_add_co_u32_e32 v28, vcc, s34, v28
	v_addc_co_u32_e32 v29, vcc, v29, v37, vcc
	;; [unrolled: 2-line block ×3, first 2 shown]
	v_cmp_eq_u64_e32 vcc, 0, v[34:35]
	s_or_b64 s[46:47], vcc, s[46:47]
	v_add_co_u32_e32 v30, vcc, s34, v30
	v_addc_co_u32_e32 v31, vcc, v31, v37, vcc
	s_andn2_b64 exec, exec, s[46:47]
	s_cbranch_execz .LBB44_48
.LBB44_9:                               ; =>This Inner Loop Header: Depth=1
	v_or_b32_e32 v33, s9, v5
	v_cmp_ne_u64_e32 vcc, 0, v[32:33]
                                        ; implicit-def: $vgpr36_vgpr37
	s_and_saveexec_b64 s[0:1], vcc
	s_xor_b64 s[2:3], exec, s[0:1]
	s_cbranch_execz .LBB44_11
; %bb.10:                               ;   in Loop: Header=BB44_9 Depth=1
	s_ashr_i32 s4, s9, 31
	s_add_u32 s0, s8, s4
	s_mov_b32 s5, s4
	s_addc_u32 s1, s9, s4
	s_xor_b64 s[6:7], s[0:1], s[4:5]
	v_cvt_f32_u32_e32 v12, s6
	v_cvt_f32_u32_e32 v13, s7
	s_sub_u32 s0, 0, s6
	s_subb_u32 s1, 0, s7
	v_mac_f32_e32 v12, 0x4f800000, v13
	v_rcp_f32_e32 v12, v12
	v_mul_f32_e32 v12, 0x5f7ffffc, v12
	v_mul_f32_e32 v13, 0x2f800000, v12
	v_trunc_f32_e32 v13, v13
	v_mac_f32_e32 v12, 0xcf800000, v13
	v_cvt_u32_f32_e32 v13, v13
	v_cvt_u32_f32_e32 v12, v12
	v_mul_lo_u32 v14, s0, v13
	v_mul_hi_u32 v16, s0, v12
	v_mul_lo_u32 v15, s1, v12
	v_add_u32_e32 v14, v16, v14
	v_mul_lo_u32 v17, s0, v12
	v_add_u32_e32 v14, v14, v15
	v_mul_lo_u32 v16, v12, v14
	v_mul_hi_u32 v18, v12, v17
	v_mul_hi_u32 v15, v12, v14
	v_add_co_u32_e32 v16, vcc, v18, v16
	v_addc_co_u32_e32 v15, vcc, 0, v15, vcc
	v_mul_hi_u32 v19, v13, v17
	v_mul_lo_u32 v17, v13, v17
	v_add_co_u32_e32 v16, vcc, v16, v17
	v_mul_hi_u32 v18, v13, v14
	v_addc_co_u32_e32 v15, vcc, v15, v19, vcc
	v_addc_co_u32_e32 v16, vcc, 0, v18, vcc
	v_mul_lo_u32 v14, v13, v14
	v_add_co_u32_e32 v14, vcc, v15, v14
	v_addc_co_u32_e32 v15, vcc, 0, v16, vcc
	v_add_co_u32_e32 v12, vcc, v12, v14
	v_addc_co_u32_e32 v13, vcc, v13, v15, vcc
	v_mul_lo_u32 v14, s0, v13
	v_mul_hi_u32 v15, s0, v12
	v_add_u32_e32 v14, v15, v14
	v_mul_lo_u32 v15, s1, v12
	v_add_u32_e32 v14, v14, v15
	v_mul_lo_u32 v16, s0, v12
	v_mul_hi_u32 v17, v13, v16
	v_mul_lo_u32 v18, v13, v16
	v_mul_lo_u32 v33, v12, v14
	v_mul_hi_u32 v16, v12, v16
	v_mul_hi_u32 v19, v12, v14
	v_add_co_u32_e32 v16, vcc, v16, v33
	v_addc_co_u32_e32 v19, vcc, 0, v19, vcc
	v_add_co_u32_e32 v16, vcc, v16, v18
	v_mul_hi_u32 v15, v13, v14
	v_addc_co_u32_e32 v16, vcc, v19, v17, vcc
	v_addc_co_u32_e32 v15, vcc, 0, v15, vcc
	v_mul_lo_u32 v14, v13, v14
	v_add_co_u32_e32 v14, vcc, v16, v14
	v_addc_co_u32_e32 v15, vcc, 0, v15, vcc
	v_add_co_u32_e32 v14, vcc, v12, v14
	v_addc_co_u32_e32 v15, vcc, v13, v15, vcc
	v_ashrrev_i32_e32 v16, 31, v5
	v_add_co_u32_e32 v12, vcc, v4, v16
	v_addc_co_u32_e32 v13, vcc, v5, v16, vcc
	v_xor_b32_e32 v18, v12, v16
	v_xor_b32_e32 v17, v13, v16
	v_mad_u64_u32 v[12:13], s[0:1], v18, v15, 0
	v_mul_hi_u32 v19, v18, v14
	v_add_co_u32_e32 v19, vcc, v19, v12
	v_addc_co_u32_e32 v33, vcc, 0, v13, vcc
	v_mad_u64_u32 v[12:13], s[0:1], v17, v15, 0
	v_mad_u64_u32 v[14:15], s[0:1], v17, v14, 0
	v_add_co_u32_e32 v14, vcc, v19, v14
	v_addc_co_u32_e32 v14, vcc, v33, v15, vcc
	v_addc_co_u32_e32 v13, vcc, 0, v13, vcc
	v_add_co_u32_e32 v14, vcc, v14, v12
	v_addc_co_u32_e32 v15, vcc, 0, v13, vcc
	v_mul_lo_u32 v19, s7, v14
	v_mul_lo_u32 v33, s6, v15
	v_mad_u64_u32 v[12:13], s[0:1], s6, v14, 0
	v_add3_u32 v13, v13, v33, v19
	v_sub_u32_e32 v19, v17, v13
	v_mov_b32_e32 v33, s7
	v_sub_co_u32_e32 v12, vcc, v18, v12
	v_subb_co_u32_e64 v18, s[0:1], v19, v33, vcc
	v_subrev_co_u32_e64 v19, s[0:1], s6, v12
	v_subbrev_co_u32_e64 v18, s[0:1], 0, v18, s[0:1]
	v_cmp_le_u32_e64 s[0:1], s7, v18
	v_cndmask_b32_e64 v33, 0, -1, s[0:1]
	v_cmp_le_u32_e64 s[0:1], s6, v19
	v_cndmask_b32_e64 v19, 0, -1, s[0:1]
	v_cmp_eq_u32_e64 s[0:1], s7, v18
	v_cndmask_b32_e64 v18, v33, v19, s[0:1]
	v_add_co_u32_e64 v19, s[0:1], 2, v14
	v_subb_co_u32_e32 v13, vcc, v17, v13, vcc
	v_addc_co_u32_e64 v33, s[0:1], 0, v15, s[0:1]
	v_cmp_le_u32_e32 vcc, s7, v13
	v_add_co_u32_e64 v36, s[0:1], 1, v14
	v_cndmask_b32_e64 v17, 0, -1, vcc
	v_cmp_le_u32_e32 vcc, s6, v12
	v_addc_co_u32_e64 v37, s[0:1], 0, v15, s[0:1]
	v_cndmask_b32_e64 v12, 0, -1, vcc
	v_cmp_eq_u32_e32 vcc, s7, v13
	v_cmp_ne_u32_e64 s[0:1], 0, v18
	v_cndmask_b32_e32 v12, v17, v12, vcc
	v_cmp_ne_u32_e32 vcc, 0, v12
	v_cndmask_b32_e64 v13, v36, v19, s[0:1]
	v_cndmask_b32_e64 v18, v37, v33, s[0:1]
	v_cndmask_b32_e32 v13, v14, v13, vcc
	v_xor_b32_e32 v14, s4, v16
	v_cndmask_b32_e32 v12, v15, v18, vcc
	v_xor_b32_e32 v13, v13, v14
	v_xor_b32_e32 v12, v12, v14
	v_sub_co_u32_e32 v36, vcc, v13, v14
	v_subb_co_u32_e32 v37, vcc, v12, v14, vcc
.LBB44_11:                              ;   in Loop: Header=BB44_9 Depth=1
	s_or_saveexec_b64 s[0:1], s[2:3]
	v_cvt_f32_u32_e32 v12, s8
	v_rcp_iflag_f32_e32 v12, v12
	s_xor_b64 exec, exec, s[0:1]
	s_cbranch_execz .LBB44_13
; %bb.12:                               ;   in Loop: Header=BB44_9 Depth=1
	v_mul_f32_e32 v13, 0x4f7ffffe, v12
	v_cvt_u32_f32_e32 v13, v13
	s_sub_i32 s2, 0, s8
	v_mov_b32_e32 v37, v32
	v_mul_lo_u32 v14, s2, v13
	v_mul_hi_u32 v14, v13, v14
	v_add_u32_e32 v13, v13, v14
	v_mul_hi_u32 v13, v4, v13
	v_mul_lo_u32 v14, v13, s8
	v_sub_u32_e32 v14, v4, v14
	v_add_u32_e32 v15, 1, v13
	v_subrev_u32_e32 v16, s8, v14
	v_cmp_le_u32_e32 vcc, s8, v14
	v_cndmask_b32_e32 v14, v14, v16, vcc
	v_cndmask_b32_e32 v13, v13, v15, vcc
	v_add_u32_e32 v15, 1, v13
	v_cmp_le_u32_e32 vcc, s8, v14
	v_cndmask_b32_e32 v36, v13, v15, vcc
.LBB44_13:                              ;   in Loop: Header=BB44_9 Depth=1
	s_or_b64 exec, exec, s[0:1]
	v_or_b32_e32 v33, s9, v7
	v_cmp_ne_u64_e32 vcc, 0, v[32:33]
                                        ; implicit-def: $vgpr38_vgpr39
	s_and_saveexec_b64 s[0:1], vcc
	s_xor_b64 s[2:3], exec, s[0:1]
	s_cbranch_execz .LBB44_15
; %bb.14:                               ;   in Loop: Header=BB44_9 Depth=1
	s_ashr_i32 s4, s9, 31
	s_add_u32 s0, s8, s4
	s_mov_b32 s5, s4
	s_addc_u32 s1, s9, s4
	s_xor_b64 s[6:7], s[0:1], s[4:5]
	v_cvt_f32_u32_e32 v13, s6
	v_cvt_f32_u32_e32 v14, s7
	s_sub_u32 s0, 0, s6
	s_subb_u32 s1, 0, s7
	v_mac_f32_e32 v13, 0x4f800000, v14
	v_rcp_f32_e32 v13, v13
	v_mul_f32_e32 v13, 0x5f7ffffc, v13
	v_mul_f32_e32 v14, 0x2f800000, v13
	v_trunc_f32_e32 v14, v14
	v_mac_f32_e32 v13, 0xcf800000, v14
	v_cvt_u32_f32_e32 v14, v14
	v_cvt_u32_f32_e32 v13, v13
	v_mul_lo_u32 v15, s0, v14
	v_mul_hi_u32 v17, s0, v13
	v_mul_lo_u32 v16, s1, v13
	v_add_u32_e32 v15, v17, v15
	v_mul_lo_u32 v18, s0, v13
	v_add_u32_e32 v15, v15, v16
	v_mul_lo_u32 v17, v13, v15
	v_mul_hi_u32 v19, v13, v18
	v_mul_hi_u32 v16, v13, v15
	v_add_co_u32_e32 v17, vcc, v19, v17
	v_addc_co_u32_e32 v16, vcc, 0, v16, vcc
	v_mul_hi_u32 v33, v14, v18
	v_mul_lo_u32 v18, v14, v18
	v_add_co_u32_e32 v17, vcc, v17, v18
	v_mul_hi_u32 v19, v14, v15
	v_addc_co_u32_e32 v16, vcc, v16, v33, vcc
	v_addc_co_u32_e32 v17, vcc, 0, v19, vcc
	v_mul_lo_u32 v15, v14, v15
	v_add_co_u32_e32 v15, vcc, v16, v15
	v_addc_co_u32_e32 v16, vcc, 0, v17, vcc
	v_add_co_u32_e32 v13, vcc, v13, v15
	v_addc_co_u32_e32 v14, vcc, v14, v16, vcc
	v_mul_lo_u32 v15, s0, v14
	v_mul_hi_u32 v16, s0, v13
	v_add_u32_e32 v15, v16, v15
	v_mul_lo_u32 v16, s1, v13
	v_add_u32_e32 v15, v15, v16
	v_mul_lo_u32 v17, s0, v13
	v_mul_hi_u32 v18, v14, v17
	v_mul_lo_u32 v19, v14, v17
	v_mul_lo_u32 v38, v13, v15
	v_mul_hi_u32 v17, v13, v17
	v_mul_hi_u32 v33, v13, v15
	v_add_co_u32_e32 v17, vcc, v17, v38
	v_addc_co_u32_e32 v33, vcc, 0, v33, vcc
	v_add_co_u32_e32 v17, vcc, v17, v19
	v_mul_hi_u32 v16, v14, v15
	v_addc_co_u32_e32 v17, vcc, v33, v18, vcc
	v_addc_co_u32_e32 v16, vcc, 0, v16, vcc
	v_mul_lo_u32 v15, v14, v15
	v_add_co_u32_e32 v15, vcc, v17, v15
	v_addc_co_u32_e32 v16, vcc, 0, v16, vcc
	v_add_co_u32_e32 v13, vcc, v13, v15
	v_addc_co_u32_e32 v16, vcc, v14, v16, vcc
	v_ashrrev_i32_e32 v18, 31, v7
	v_add_co_u32_e32 v14, vcc, v6, v18
	v_addc_co_u32_e32 v15, vcc, v7, v18, vcc
	v_xor_b32_e32 v33, v14, v18
	v_xor_b32_e32 v19, v15, v18
	v_mad_u64_u32 v[14:15], s[0:1], v33, v16, 0
	v_mul_hi_u32 v17, v33, v13
	v_add_co_u32_e32 v38, vcc, v17, v14
	v_addc_co_u32_e32 v39, vcc, 0, v15, vcc
	v_mad_u64_u32 v[14:15], s[0:1], v19, v16, 0
	v_mad_u64_u32 v[16:17], s[0:1], v19, v13, 0
	v_add_co_u32_e32 v13, vcc, v38, v16
	v_addc_co_u32_e32 v13, vcc, v39, v17, vcc
	v_addc_co_u32_e32 v15, vcc, 0, v15, vcc
	v_add_co_u32_e32 v13, vcc, v13, v14
	v_addc_co_u32_e32 v16, vcc, 0, v15, vcc
	v_mul_lo_u32 v17, s7, v13
	v_mul_lo_u32 v38, s6, v16
	v_mad_u64_u32 v[14:15], s[0:1], s6, v13, 0
	v_add3_u32 v15, v15, v38, v17
	v_sub_u32_e32 v17, v19, v15
	v_mov_b32_e32 v38, s7
	v_sub_co_u32_e32 v14, vcc, v33, v14
	v_subb_co_u32_e64 v17, s[0:1], v17, v38, vcc
	v_subrev_co_u32_e64 v33, s[0:1], s6, v14
	v_subbrev_co_u32_e64 v17, s[0:1], 0, v17, s[0:1]
	v_cmp_le_u32_e64 s[0:1], s7, v17
	v_cndmask_b32_e64 v38, 0, -1, s[0:1]
	v_cmp_le_u32_e64 s[0:1], s6, v33
	v_cndmask_b32_e64 v33, 0, -1, s[0:1]
	v_cmp_eq_u32_e64 s[0:1], s7, v17
	v_cndmask_b32_e64 v17, v38, v33, s[0:1]
	v_add_co_u32_e64 v33, s[0:1], 2, v13
	v_subb_co_u32_e32 v15, vcc, v19, v15, vcc
	v_addc_co_u32_e64 v38, s[0:1], 0, v16, s[0:1]
	v_cmp_le_u32_e32 vcc, s7, v15
	v_add_co_u32_e64 v39, s[0:1], 1, v13
	v_cndmask_b32_e64 v19, 0, -1, vcc
	v_cmp_le_u32_e32 vcc, s6, v14
	v_addc_co_u32_e64 v40, s[0:1], 0, v16, s[0:1]
	v_cndmask_b32_e64 v14, 0, -1, vcc
	v_cmp_eq_u32_e32 vcc, s7, v15
	v_cmp_ne_u32_e64 s[0:1], 0, v17
	v_cndmask_b32_e32 v14, v19, v14, vcc
	v_cmp_ne_u32_e32 vcc, 0, v14
	v_cndmask_b32_e64 v15, v39, v33, s[0:1]
	v_cndmask_b32_e64 v17, v40, v38, s[0:1]
	v_cndmask_b32_e32 v13, v13, v15, vcc
	v_xor_b32_e32 v15, s4, v18
	v_cndmask_b32_e32 v14, v16, v17, vcc
	v_xor_b32_e32 v13, v13, v15
	v_xor_b32_e32 v14, v14, v15
	v_sub_co_u32_e32 v38, vcc, v13, v15
	v_subb_co_u32_e32 v39, vcc, v14, v15, vcc
.LBB44_15:                              ;   in Loop: Header=BB44_9 Depth=1
	s_andn2_saveexec_b64 s[0:1], s[2:3]
	s_cbranch_execz .LBB44_17
; %bb.16:                               ;   in Loop: Header=BB44_9 Depth=1
	v_mul_f32_e32 v13, 0x4f7ffffe, v12
	v_cvt_u32_f32_e32 v13, v13
	s_sub_i32 s2, 0, s8
	v_mov_b32_e32 v39, v32
	v_mul_lo_u32 v14, s2, v13
	v_mul_hi_u32 v14, v13, v14
	v_add_u32_e32 v13, v13, v14
	v_mul_hi_u32 v13, v6, v13
	v_mul_lo_u32 v14, v13, s8
	v_sub_u32_e32 v14, v6, v14
	v_add_u32_e32 v15, 1, v13
	v_subrev_u32_e32 v16, s8, v14
	v_cmp_le_u32_e32 vcc, s8, v14
	v_cndmask_b32_e32 v14, v14, v16, vcc
	v_cndmask_b32_e32 v13, v13, v15, vcc
	v_add_u32_e32 v15, 1, v13
	v_cmp_le_u32_e32 vcc, s8, v14
	v_cndmask_b32_e32 v38, v13, v15, vcc
.LBB44_17:                              ;   in Loop: Header=BB44_9 Depth=1
	s_or_b64 exec, exec, s[0:1]
	v_or_b32_e32 v33, s9, v9
	v_cmp_ne_u64_e32 vcc, 0, v[32:33]
                                        ; implicit-def: $vgpr40_vgpr41
	s_and_saveexec_b64 s[0:1], vcc
	s_xor_b64 s[2:3], exec, s[0:1]
	s_cbranch_execz .LBB44_19
; %bb.18:                               ;   in Loop: Header=BB44_9 Depth=1
	s_ashr_i32 s4, s9, 31
	s_add_u32 s0, s8, s4
	s_mov_b32 s5, s4
	s_addc_u32 s1, s9, s4
	s_xor_b64 s[6:7], s[0:1], s[4:5]
	v_cvt_f32_u32_e32 v13, s6
	v_cvt_f32_u32_e32 v14, s7
	s_sub_u32 s0, 0, s6
	s_subb_u32 s1, 0, s7
	v_mac_f32_e32 v13, 0x4f800000, v14
	v_rcp_f32_e32 v13, v13
	v_mul_f32_e32 v13, 0x5f7ffffc, v13
	v_mul_f32_e32 v14, 0x2f800000, v13
	v_trunc_f32_e32 v14, v14
	v_mac_f32_e32 v13, 0xcf800000, v14
	v_cvt_u32_f32_e32 v14, v14
	v_cvt_u32_f32_e32 v13, v13
	v_mul_lo_u32 v15, s0, v14
	v_mul_hi_u32 v17, s0, v13
	v_mul_lo_u32 v16, s1, v13
	v_add_u32_e32 v15, v17, v15
	v_mul_lo_u32 v18, s0, v13
	v_add_u32_e32 v15, v15, v16
	v_mul_lo_u32 v17, v13, v15
	v_mul_hi_u32 v19, v13, v18
	v_mul_hi_u32 v16, v13, v15
	v_add_co_u32_e32 v17, vcc, v19, v17
	v_addc_co_u32_e32 v16, vcc, 0, v16, vcc
	v_mul_hi_u32 v33, v14, v18
	v_mul_lo_u32 v18, v14, v18
	v_add_co_u32_e32 v17, vcc, v17, v18
	v_mul_hi_u32 v19, v14, v15
	v_addc_co_u32_e32 v16, vcc, v16, v33, vcc
	v_addc_co_u32_e32 v17, vcc, 0, v19, vcc
	v_mul_lo_u32 v15, v14, v15
	v_add_co_u32_e32 v15, vcc, v16, v15
	v_addc_co_u32_e32 v16, vcc, 0, v17, vcc
	v_add_co_u32_e32 v13, vcc, v13, v15
	v_addc_co_u32_e32 v14, vcc, v14, v16, vcc
	v_mul_lo_u32 v15, s0, v14
	v_mul_hi_u32 v16, s0, v13
	v_add_u32_e32 v15, v16, v15
	v_mul_lo_u32 v16, s1, v13
	v_add_u32_e32 v15, v15, v16
	v_mul_lo_u32 v17, s0, v13
	v_mul_hi_u32 v18, v14, v17
	v_mul_lo_u32 v19, v14, v17
	v_mul_lo_u32 v40, v13, v15
	v_mul_hi_u32 v17, v13, v17
	v_mul_hi_u32 v33, v13, v15
	v_add_co_u32_e32 v17, vcc, v17, v40
	v_addc_co_u32_e32 v33, vcc, 0, v33, vcc
	v_add_co_u32_e32 v17, vcc, v17, v19
	v_mul_hi_u32 v16, v14, v15
	v_addc_co_u32_e32 v17, vcc, v33, v18, vcc
	v_addc_co_u32_e32 v16, vcc, 0, v16, vcc
	v_mul_lo_u32 v15, v14, v15
	v_add_co_u32_e32 v15, vcc, v17, v15
	v_addc_co_u32_e32 v16, vcc, 0, v16, vcc
	v_add_co_u32_e32 v13, vcc, v13, v15
	v_addc_co_u32_e32 v16, vcc, v14, v16, vcc
	v_ashrrev_i32_e32 v18, 31, v9
	v_add_co_u32_e32 v14, vcc, v8, v18
	v_addc_co_u32_e32 v15, vcc, v9, v18, vcc
	v_xor_b32_e32 v33, v14, v18
	v_xor_b32_e32 v19, v15, v18
	v_mad_u64_u32 v[14:15], s[0:1], v33, v16, 0
	v_mul_hi_u32 v17, v33, v13
	v_add_co_u32_e32 v40, vcc, v17, v14
	v_addc_co_u32_e32 v41, vcc, 0, v15, vcc
	v_mad_u64_u32 v[14:15], s[0:1], v19, v16, 0
	v_mad_u64_u32 v[16:17], s[0:1], v19, v13, 0
	v_add_co_u32_e32 v13, vcc, v40, v16
	v_addc_co_u32_e32 v13, vcc, v41, v17, vcc
	v_addc_co_u32_e32 v15, vcc, 0, v15, vcc
	v_add_co_u32_e32 v13, vcc, v13, v14
	v_addc_co_u32_e32 v16, vcc, 0, v15, vcc
	v_mul_lo_u32 v17, s7, v13
	v_mul_lo_u32 v40, s6, v16
	v_mad_u64_u32 v[14:15], s[0:1], s6, v13, 0
	v_add3_u32 v15, v15, v40, v17
	v_sub_u32_e32 v17, v19, v15
	v_mov_b32_e32 v40, s7
	v_sub_co_u32_e32 v14, vcc, v33, v14
	v_subb_co_u32_e64 v17, s[0:1], v17, v40, vcc
	v_subrev_co_u32_e64 v33, s[0:1], s6, v14
	v_subbrev_co_u32_e64 v17, s[0:1], 0, v17, s[0:1]
	v_cmp_le_u32_e64 s[0:1], s7, v17
	v_cndmask_b32_e64 v40, 0, -1, s[0:1]
	v_cmp_le_u32_e64 s[0:1], s6, v33
	v_cndmask_b32_e64 v33, 0, -1, s[0:1]
	v_cmp_eq_u32_e64 s[0:1], s7, v17
	v_cndmask_b32_e64 v17, v40, v33, s[0:1]
	v_add_co_u32_e64 v33, s[0:1], 2, v13
	v_subb_co_u32_e32 v15, vcc, v19, v15, vcc
	v_addc_co_u32_e64 v40, s[0:1], 0, v16, s[0:1]
	v_cmp_le_u32_e32 vcc, s7, v15
	v_add_co_u32_e64 v41, s[0:1], 1, v13
	v_cndmask_b32_e64 v19, 0, -1, vcc
	v_cmp_le_u32_e32 vcc, s6, v14
	v_addc_co_u32_e64 v42, s[0:1], 0, v16, s[0:1]
	v_cndmask_b32_e64 v14, 0, -1, vcc
	v_cmp_eq_u32_e32 vcc, s7, v15
	v_cmp_ne_u32_e64 s[0:1], 0, v17
	v_cndmask_b32_e32 v14, v19, v14, vcc
	v_cmp_ne_u32_e32 vcc, 0, v14
	v_cndmask_b32_e64 v15, v41, v33, s[0:1]
	v_cndmask_b32_e64 v17, v42, v40, s[0:1]
	v_cndmask_b32_e32 v13, v13, v15, vcc
	v_xor_b32_e32 v15, s4, v18
	v_cndmask_b32_e32 v14, v16, v17, vcc
	v_xor_b32_e32 v13, v13, v15
	v_xor_b32_e32 v14, v14, v15
	v_sub_co_u32_e32 v40, vcc, v13, v15
	v_subb_co_u32_e32 v41, vcc, v14, v15, vcc
.LBB44_19:                              ;   in Loop: Header=BB44_9 Depth=1
	s_andn2_saveexec_b64 s[0:1], s[2:3]
	s_cbranch_execz .LBB44_21
; %bb.20:                               ;   in Loop: Header=BB44_9 Depth=1
	v_mul_f32_e32 v13, 0x4f7ffffe, v12
	v_cvt_u32_f32_e32 v13, v13
	s_sub_i32 s2, 0, s8
	v_mov_b32_e32 v41, v32
	v_mul_lo_u32 v14, s2, v13
	v_mul_hi_u32 v14, v13, v14
	v_add_u32_e32 v13, v13, v14
	v_mul_hi_u32 v13, v8, v13
	v_mul_lo_u32 v14, v13, s8
	v_sub_u32_e32 v14, v8, v14
	v_add_u32_e32 v15, 1, v13
	v_subrev_u32_e32 v16, s8, v14
	v_cmp_le_u32_e32 vcc, s8, v14
	v_cndmask_b32_e32 v14, v14, v16, vcc
	v_cndmask_b32_e32 v13, v13, v15, vcc
	v_add_u32_e32 v15, 1, v13
	v_cmp_le_u32_e32 vcc, s8, v14
	v_cndmask_b32_e32 v40, v13, v15, vcc
.LBB44_21:                              ;   in Loop: Header=BB44_9 Depth=1
	s_or_b64 exec, exec, s[0:1]
	v_or_b32_e32 v33, s9, v11
	v_cmp_ne_u64_e32 vcc, 0, v[32:33]
                                        ; implicit-def: $vgpr42_vgpr43
	s_and_saveexec_b64 s[0:1], vcc
	s_xor_b64 s[2:3], exec, s[0:1]
	s_cbranch_execz .LBB44_23
; %bb.22:                               ;   in Loop: Header=BB44_9 Depth=1
	s_ashr_i32 s4, s9, 31
	s_add_u32 s0, s8, s4
	s_mov_b32 s5, s4
	s_addc_u32 s1, s9, s4
	s_xor_b64 s[6:7], s[0:1], s[4:5]
	v_cvt_f32_u32_e32 v12, s6
	v_cvt_f32_u32_e32 v13, s7
	s_sub_u32 s0, 0, s6
	s_subb_u32 s1, 0, s7
	v_mac_f32_e32 v12, 0x4f800000, v13
	v_rcp_f32_e32 v12, v12
	v_mul_f32_e32 v12, 0x5f7ffffc, v12
	v_mul_f32_e32 v13, 0x2f800000, v12
	v_trunc_f32_e32 v13, v13
	v_mac_f32_e32 v12, 0xcf800000, v13
	v_cvt_u32_f32_e32 v13, v13
	v_cvt_u32_f32_e32 v12, v12
	v_mul_lo_u32 v14, s0, v13
	v_mul_hi_u32 v16, s0, v12
	v_mul_lo_u32 v15, s1, v12
	v_add_u32_e32 v14, v16, v14
	v_mul_lo_u32 v17, s0, v12
	v_add_u32_e32 v14, v14, v15
	v_mul_lo_u32 v16, v12, v14
	v_mul_hi_u32 v18, v12, v17
	v_mul_hi_u32 v15, v12, v14
	v_add_co_u32_e32 v16, vcc, v18, v16
	v_addc_co_u32_e32 v15, vcc, 0, v15, vcc
	v_mul_hi_u32 v19, v13, v17
	v_mul_lo_u32 v17, v13, v17
	v_add_co_u32_e32 v16, vcc, v16, v17
	v_mul_hi_u32 v18, v13, v14
	v_addc_co_u32_e32 v15, vcc, v15, v19, vcc
	v_addc_co_u32_e32 v16, vcc, 0, v18, vcc
	v_mul_lo_u32 v14, v13, v14
	v_add_co_u32_e32 v14, vcc, v15, v14
	v_addc_co_u32_e32 v15, vcc, 0, v16, vcc
	v_add_co_u32_e32 v12, vcc, v12, v14
	v_addc_co_u32_e32 v13, vcc, v13, v15, vcc
	v_mul_lo_u32 v14, s0, v13
	v_mul_hi_u32 v15, s0, v12
	v_add_u32_e32 v14, v15, v14
	v_mul_lo_u32 v15, s1, v12
	v_add_u32_e32 v14, v14, v15
	v_mul_lo_u32 v16, s0, v12
	v_mul_hi_u32 v17, v13, v16
	v_mul_lo_u32 v18, v13, v16
	v_mul_lo_u32 v33, v12, v14
	v_mul_hi_u32 v16, v12, v16
	v_mul_hi_u32 v19, v12, v14
	v_add_co_u32_e32 v16, vcc, v16, v33
	v_addc_co_u32_e32 v19, vcc, 0, v19, vcc
	v_add_co_u32_e32 v16, vcc, v16, v18
	v_mul_hi_u32 v15, v13, v14
	v_addc_co_u32_e32 v16, vcc, v19, v17, vcc
	v_addc_co_u32_e32 v15, vcc, 0, v15, vcc
	v_mul_lo_u32 v14, v13, v14
	v_add_co_u32_e32 v14, vcc, v16, v14
	v_addc_co_u32_e32 v15, vcc, 0, v15, vcc
	v_add_co_u32_e32 v14, vcc, v12, v14
	v_addc_co_u32_e32 v15, vcc, v13, v15, vcc
	v_ashrrev_i32_e32 v16, 31, v11
	v_add_co_u32_e32 v12, vcc, v10, v16
	v_addc_co_u32_e32 v13, vcc, v11, v16, vcc
	v_xor_b32_e32 v18, v12, v16
	v_xor_b32_e32 v17, v13, v16
	v_mad_u64_u32 v[12:13], s[0:1], v18, v15, 0
	v_mul_hi_u32 v19, v18, v14
	v_add_co_u32_e32 v19, vcc, v19, v12
	v_addc_co_u32_e32 v33, vcc, 0, v13, vcc
	v_mad_u64_u32 v[12:13], s[0:1], v17, v15, 0
	v_mad_u64_u32 v[14:15], s[0:1], v17, v14, 0
	v_add_co_u32_e32 v14, vcc, v19, v14
	v_addc_co_u32_e32 v14, vcc, v33, v15, vcc
	v_addc_co_u32_e32 v13, vcc, 0, v13, vcc
	v_add_co_u32_e32 v14, vcc, v14, v12
	v_addc_co_u32_e32 v15, vcc, 0, v13, vcc
	v_mul_lo_u32 v19, s7, v14
	v_mul_lo_u32 v33, s6, v15
	v_mad_u64_u32 v[12:13], s[0:1], s6, v14, 0
	v_add3_u32 v13, v13, v33, v19
	v_sub_u32_e32 v19, v17, v13
	v_mov_b32_e32 v33, s7
	v_sub_co_u32_e32 v12, vcc, v18, v12
	v_subb_co_u32_e64 v18, s[0:1], v19, v33, vcc
	v_subrev_co_u32_e64 v19, s[0:1], s6, v12
	v_subbrev_co_u32_e64 v18, s[0:1], 0, v18, s[0:1]
	v_cmp_le_u32_e64 s[0:1], s7, v18
	v_cndmask_b32_e64 v33, 0, -1, s[0:1]
	v_cmp_le_u32_e64 s[0:1], s6, v19
	v_cndmask_b32_e64 v19, 0, -1, s[0:1]
	v_cmp_eq_u32_e64 s[0:1], s7, v18
	v_cndmask_b32_e64 v18, v33, v19, s[0:1]
	v_add_co_u32_e64 v19, s[0:1], 2, v14
	v_subb_co_u32_e32 v13, vcc, v17, v13, vcc
	v_addc_co_u32_e64 v33, s[0:1], 0, v15, s[0:1]
	v_cmp_le_u32_e32 vcc, s7, v13
	v_add_co_u32_e64 v42, s[0:1], 1, v14
	v_cndmask_b32_e64 v17, 0, -1, vcc
	v_cmp_le_u32_e32 vcc, s6, v12
	v_addc_co_u32_e64 v43, s[0:1], 0, v15, s[0:1]
	v_cndmask_b32_e64 v12, 0, -1, vcc
	v_cmp_eq_u32_e32 vcc, s7, v13
	v_cmp_ne_u32_e64 s[0:1], 0, v18
	v_cndmask_b32_e32 v12, v17, v12, vcc
	v_cmp_ne_u32_e32 vcc, 0, v12
	v_cndmask_b32_e64 v13, v42, v19, s[0:1]
	v_cndmask_b32_e64 v18, v43, v33, s[0:1]
	v_cndmask_b32_e32 v13, v14, v13, vcc
	v_xor_b32_e32 v14, s4, v16
	v_cndmask_b32_e32 v12, v15, v18, vcc
	v_xor_b32_e32 v13, v13, v14
	v_xor_b32_e32 v12, v12, v14
	v_sub_co_u32_e32 v42, vcc, v13, v14
	v_subb_co_u32_e32 v43, vcc, v12, v14, vcc
                                        ; implicit-def: $vgpr12
.LBB44_23:                              ;   in Loop: Header=BB44_9 Depth=1
	s_andn2_saveexec_b64 s[0:1], s[2:3]
	s_cbranch_execz .LBB44_25
; %bb.24:                               ;   in Loop: Header=BB44_9 Depth=1
	v_mul_f32_e32 v12, 0x4f7ffffe, v12
	v_cvt_u32_f32_e32 v12, v12
	s_sub_i32 s2, 0, s8
	v_mov_b32_e32 v43, v32
	v_mul_lo_u32 v13, s2, v12
	v_mul_hi_u32 v13, v12, v13
	v_add_u32_e32 v12, v12, v13
	v_mul_hi_u32 v12, v10, v12
	v_mul_lo_u32 v13, v12, s8
	v_sub_u32_e32 v13, v10, v13
	v_add_u32_e32 v14, 1, v12
	v_subrev_u32_e32 v15, s8, v13
	v_cmp_le_u32_e32 vcc, s8, v13
	v_cndmask_b32_e32 v13, v13, v15, vcc
	v_cndmask_b32_e32 v12, v12, v14, vcc
	v_add_u32_e32 v14, 1, v12
	v_cmp_le_u32_e32 vcc, s8, v13
	v_cndmask_b32_e32 v42, v12, v14, vcc
.LBB44_25:                              ;   in Loop: Header=BB44_9 Depth=1
	s_or_b64 exec, exec, s[0:1]
	v_cndmask_b32_e64 v12, 0, 1, s[48:49]
	v_cmp_ne_u32_e64 s[0:1], 1, v12
	s_andn2_b64 vcc, exec, s[48:49]
                                        ; implicit-def: $vgpr12_vgpr13_vgpr14_vgpr15_vgpr16_vgpr17_vgpr18_vgpr19
	s_cbranch_vccz .LBB44_29
; %bb.26:                               ;   in Loop: Header=BB44_9 Depth=1
	s_and_b64 vcc, exec, s[0:1]
	s_cbranch_vccz .LBB44_34
.LBB44_27:                              ;   in Loop: Header=BB44_9 Depth=1
	s_and_b64 vcc, exec, s[0:1]
	s_cbranch_vccz .LBB44_39
.LBB44_28:                              ;   in Loop: Header=BB44_9 Depth=1
	s_and_b64 vcc, exec, s[0:1]
	s_cbranch_vccnz .LBB44_8
	s_branch .LBB44_44
.LBB44_29:                              ;   in Loop: Header=BB44_9 Depth=1
	v_mad_u64_u32 v[14:15], s[2:3], s30, v36, v[24:25]
	v_mul_lo_u32 v12, s30, v37
	v_mul_lo_u32 v13, s31, v36
	v_add3_u32 v15, v13, v15, v12
	v_or_b32_e32 v33, s23, v15
	v_cmp_ne_u64_e32 vcc, 0, v[32:33]
                                        ; implicit-def: $vgpr12_vgpr13
	s_and_saveexec_b64 s[2:3], vcc
	s_xor_b64 s[6:7], exec, s[2:3]
	s_cbranch_execz .LBB44_31
; %bb.30:                               ;   in Loop: Header=BB44_9 Depth=1
	s_ashr_i32 s2, s23, 31
	s_add_u32 s4, s22, s2
	s_mov_b32 s3, s2
	s_addc_u32 s5, s23, s2
	s_xor_b64 s[52:53], s[4:5], s[2:3]
	v_cvt_f32_u32_e32 v12, s52
	v_cvt_f32_u32_e32 v13, s53
	s_sub_u32 s2, 0, s52
	s_subb_u32 s3, 0, s53
	v_mac_f32_e32 v12, 0x4f800000, v13
	v_rcp_f32_e32 v12, v12
	v_mul_f32_e32 v12, 0x5f7ffffc, v12
	v_mul_f32_e32 v13, 0x2f800000, v12
	v_trunc_f32_e32 v13, v13
	v_mac_f32_e32 v12, 0xcf800000, v13
	v_cvt_u32_f32_e32 v13, v13
	v_cvt_u32_f32_e32 v12, v12
	v_mul_lo_u32 v16, s2, v13
	v_mul_hi_u32 v18, s2, v12
	v_mul_lo_u32 v17, s3, v12
	v_add_u32_e32 v16, v18, v16
	v_mul_lo_u32 v19, s2, v12
	v_add_u32_e32 v16, v16, v17
	v_mul_lo_u32 v18, v12, v16
	v_mul_hi_u32 v33, v12, v19
	v_mul_hi_u32 v17, v12, v16
	v_add_co_u32_e32 v18, vcc, v33, v18
	v_addc_co_u32_e32 v17, vcc, 0, v17, vcc
	v_mul_hi_u32 v44, v13, v19
	v_mul_lo_u32 v19, v13, v19
	v_add_co_u32_e32 v18, vcc, v18, v19
	v_mul_hi_u32 v33, v13, v16
	v_addc_co_u32_e32 v17, vcc, v17, v44, vcc
	v_addc_co_u32_e32 v18, vcc, 0, v33, vcc
	v_mul_lo_u32 v16, v13, v16
	v_add_co_u32_e32 v16, vcc, v17, v16
	v_addc_co_u32_e32 v17, vcc, 0, v18, vcc
	v_add_co_u32_e32 v12, vcc, v12, v16
	v_addc_co_u32_e32 v13, vcc, v13, v17, vcc
	v_mul_lo_u32 v16, s2, v13
	v_mul_hi_u32 v17, s2, v12
	v_add_u32_e32 v16, v17, v16
	v_mul_lo_u32 v17, s3, v12
	v_add_u32_e32 v16, v16, v17
	v_mul_lo_u32 v18, s2, v12
	v_mul_hi_u32 v19, v13, v18
	v_mul_lo_u32 v33, v13, v18
	v_mul_lo_u32 v45, v12, v16
	v_mul_hi_u32 v18, v12, v18
	v_mul_hi_u32 v44, v12, v16
	v_add_co_u32_e32 v18, vcc, v18, v45
	v_addc_co_u32_e32 v44, vcc, 0, v44, vcc
	v_add_co_u32_e32 v18, vcc, v18, v33
	v_mul_hi_u32 v17, v13, v16
	v_addc_co_u32_e32 v18, vcc, v44, v19, vcc
	v_addc_co_u32_e32 v17, vcc, 0, v17, vcc
	v_mul_lo_u32 v16, v13, v16
	v_add_co_u32_e32 v16, vcc, v18, v16
	v_addc_co_u32_e32 v17, vcc, 0, v17, vcc
	v_add_co_u32_e32 v16, vcc, v12, v16
	v_addc_co_u32_e32 v17, vcc, v13, v17, vcc
	v_ashrrev_i32_e32 v18, 31, v15
	v_add_co_u32_e32 v12, vcc, v14, v18
	v_addc_co_u32_e32 v13, vcc, v15, v18, vcc
	v_xor_b32_e32 v33, v12, v18
	v_xor_b32_e32 v19, v13, v18
	v_mad_u64_u32 v[12:13], s[2:3], v33, v17, 0
	v_mul_hi_u32 v14, v33, v16
	v_add_co_u32_e32 v44, vcc, v14, v12
	v_addc_co_u32_e32 v45, vcc, 0, v13, vcc
	v_mad_u64_u32 v[14:15], s[2:3], v19, v16, 0
	v_add_co_u32_e32 v14, vcc, v44, v14
	v_mad_u64_u32 v[12:13], s[2:3], v19, v17, 0
	v_addc_co_u32_e32 v14, vcc, v45, v15, vcc
	v_addc_co_u32_e32 v13, vcc, 0, v13, vcc
	v_add_co_u32_e32 v12, vcc, v14, v12
	v_addc_co_u32_e32 v13, vcc, 0, v13, vcc
	v_mul_lo_u32 v14, s53, v12
	v_mul_lo_u32 v15, s52, v13
	v_mad_u64_u32 v[12:13], s[2:3], s52, v12, 0
	v_add3_u32 v13, v13, v15, v14
	v_sub_u32_e32 v14, v19, v13
	v_mov_b32_e32 v15, s53
	v_sub_co_u32_e32 v12, vcc, v33, v12
	v_subb_co_u32_e64 v14, s[2:3], v14, v15, vcc
	v_subrev_co_u32_e64 v16, s[2:3], s52, v12
	v_subbrev_co_u32_e64 v17, s[4:5], 0, v14, s[2:3]
	v_cmp_le_u32_e64 s[4:5], s53, v17
	v_cndmask_b32_e64 v33, 0, -1, s[4:5]
	v_cmp_le_u32_e64 s[4:5], s52, v16
	v_subb_co_u32_e64 v14, s[2:3], v14, v15, s[2:3]
	v_cndmask_b32_e64 v44, 0, -1, s[4:5]
	v_cmp_eq_u32_e64 s[4:5], s53, v17
	v_subrev_co_u32_e64 v15, s[2:3], s52, v16
	v_cndmask_b32_e64 v33, v33, v44, s[4:5]
	v_subbrev_co_u32_e64 v14, s[2:3], 0, v14, s[2:3]
	v_subb_co_u32_e32 v13, vcc, v19, v13, vcc
	v_cmp_ne_u32_e64 s[2:3], 0, v33
	v_cmp_le_u32_e32 vcc, s53, v13
	v_cndmask_b32_e64 v14, v17, v14, s[2:3]
	v_cndmask_b32_e64 v17, 0, -1, vcc
	v_cmp_le_u32_e32 vcc, s52, v12
	v_cndmask_b32_e64 v19, 0, -1, vcc
	v_cmp_eq_u32_e32 vcc, s53, v13
	v_cndmask_b32_e32 v17, v17, v19, vcc
	v_cmp_ne_u32_e32 vcc, 0, v17
	v_cndmask_b32_e32 v13, v13, v14, vcc
	v_cndmask_b32_e64 v14, v16, v15, s[2:3]
	v_cndmask_b32_e32 v12, v12, v14, vcc
	v_xor_b32_e32 v12, v12, v18
	v_xor_b32_e32 v13, v13, v18
	v_sub_co_u32_e32 v12, vcc, v12, v18
	v_subb_co_u32_e32 v13, vcc, v13, v18, vcc
                                        ; implicit-def: $vgpr14_vgpr15
.LBB44_31:                              ;   in Loop: Header=BB44_9 Depth=1
	s_andn2_saveexec_b64 s[2:3], s[6:7]
	s_cbranch_execz .LBB44_33
; %bb.32:                               ;   in Loop: Header=BB44_9 Depth=1
	v_cvt_f32_u32_e32 v12, s22
	s_sub_i32 s4, 0, s22
	v_rcp_iflag_f32_e32 v12, v12
	v_mul_f32_e32 v12, 0x4f7ffffe, v12
	v_cvt_u32_f32_e32 v12, v12
	v_mul_lo_u32 v13, s4, v12
	v_mul_hi_u32 v13, v12, v13
	v_add_u32_e32 v12, v12, v13
	v_mul_hi_u32 v12, v14, v12
	v_mul_lo_u32 v12, v12, s22
	v_sub_u32_e32 v12, v14, v12
	v_subrev_u32_e32 v13, s22, v12
	v_cmp_le_u32_e32 vcc, s22, v12
	v_cndmask_b32_e32 v12, v12, v13, vcc
	v_subrev_u32_e32 v13, s22, v12
	v_cmp_le_u32_e32 vcc, s22, v12
	v_cndmask_b32_e32 v12, v12, v13, vcc
	v_mov_b32_e32 v13, v32
.LBB44_33:                              ;   in Loop: Header=BB44_9 Depth=1
	s_or_b64 exec, exec, s[2:3]
                                        ; kill: def $vgpr14 killed $sgpr0 killed $exec
	s_and_b64 vcc, exec, s[0:1]
	s_cbranch_vccnz .LBB44_27
.LBB44_34:                              ;   in Loop: Header=BB44_9 Depth=1
	v_mad_u64_u32 v[44:45], s[2:3], s30, v38, v[30:31]
	v_mul_lo_u32 v14, s30, v39
	v_mul_lo_u32 v15, s31, v38
	v_add3_u32 v45, v15, v45, v14
	v_or_b32_e32 v33, s23, v45
	v_cmp_ne_u64_e32 vcc, 0, v[32:33]
                                        ; kill: def $vgpr14_vgpr15 killed $sgpr0_sgpr1 killed $exec
	s_and_saveexec_b64 s[2:3], vcc
	s_xor_b64 s[6:7], exec, s[2:3]
	s_cbranch_execz .LBB44_36
; %bb.35:                               ;   in Loop: Header=BB44_9 Depth=1
	s_ashr_i32 s2, s23, 31
	s_add_u32 s4, s22, s2
	s_mov_b32 s3, s2
	s_addc_u32 s5, s23, s2
	s_xor_b64 s[52:53], s[4:5], s[2:3]
	v_cvt_f32_u32_e32 v14, s52
	v_cvt_f32_u32_e32 v15, s53
	s_sub_u32 s2, 0, s52
	s_subb_u32 s3, 0, s53
	v_mac_f32_e32 v14, 0x4f800000, v15
	v_rcp_f32_e32 v14, v14
	v_mul_f32_e32 v14, 0x5f7ffffc, v14
	v_mul_f32_e32 v15, 0x2f800000, v14
	v_trunc_f32_e32 v15, v15
	v_mac_f32_e32 v14, 0xcf800000, v15
	v_cvt_u32_f32_e32 v15, v15
	v_cvt_u32_f32_e32 v14, v14
	v_mul_lo_u32 v33, s2, v15
	v_mul_hi_u32 v47, s2, v14
	v_mul_lo_u32 v46, s3, v14
	v_add_u32_e32 v33, v47, v33
	v_mul_lo_u32 v48, s2, v14
	v_add_u32_e32 v33, v33, v46
	v_mul_lo_u32 v47, v14, v33
	v_mul_hi_u32 v49, v14, v48
	v_mul_hi_u32 v46, v14, v33
	v_add_co_u32_e32 v47, vcc, v49, v47
	v_addc_co_u32_e32 v46, vcc, 0, v46, vcc
	v_mul_hi_u32 v50, v15, v48
	v_mul_lo_u32 v48, v15, v48
	v_add_co_u32_e32 v47, vcc, v47, v48
	v_mul_hi_u32 v49, v15, v33
	v_addc_co_u32_e32 v46, vcc, v46, v50, vcc
	v_addc_co_u32_e32 v47, vcc, 0, v49, vcc
	v_mul_lo_u32 v33, v15, v33
	v_add_co_u32_e32 v33, vcc, v46, v33
	v_addc_co_u32_e32 v46, vcc, 0, v47, vcc
	v_add_co_u32_e32 v14, vcc, v14, v33
	v_addc_co_u32_e32 v15, vcc, v15, v46, vcc
	v_mul_lo_u32 v33, s2, v15
	v_mul_hi_u32 v46, s2, v14
	v_add_u32_e32 v33, v46, v33
	v_mul_lo_u32 v46, s3, v14
	v_add_u32_e32 v33, v33, v46
	v_mul_lo_u32 v47, s2, v14
	v_mul_hi_u32 v48, v15, v47
	v_mul_lo_u32 v49, v15, v47
	v_mul_lo_u32 v51, v14, v33
	v_mul_hi_u32 v47, v14, v47
	v_mul_hi_u32 v50, v14, v33
	v_add_co_u32_e32 v47, vcc, v47, v51
	v_addc_co_u32_e32 v50, vcc, 0, v50, vcc
	v_add_co_u32_e32 v47, vcc, v47, v49
	v_mul_hi_u32 v46, v15, v33
	v_addc_co_u32_e32 v47, vcc, v50, v48, vcc
	v_addc_co_u32_e32 v46, vcc, 0, v46, vcc
	v_mul_lo_u32 v33, v15, v33
	v_add_co_u32_e32 v33, vcc, v47, v33
	v_addc_co_u32_e32 v46, vcc, 0, v46, vcc
	v_add_co_u32_e32 v33, vcc, v14, v33
	v_addc_co_u32_e32 v46, vcc, v15, v46, vcc
	v_ashrrev_i32_e32 v47, 31, v45
	v_add_co_u32_e32 v14, vcc, v44, v47
	v_addc_co_u32_e32 v15, vcc, v45, v47, vcc
	v_xor_b32_e32 v49, v14, v47
	v_xor_b32_e32 v48, v15, v47
	v_mad_u64_u32 v[14:15], s[2:3], v49, v46, 0
	v_mul_hi_u32 v44, v49, v33
	v_add_co_u32_e32 v50, vcc, v44, v14
	v_addc_co_u32_e32 v51, vcc, 0, v15, vcc
	v_mad_u64_u32 v[44:45], s[2:3], v48, v33, 0
	v_add_co_u32_e32 v33, vcc, v50, v44
	v_mad_u64_u32 v[14:15], s[2:3], v48, v46, 0
	v_addc_co_u32_e32 v33, vcc, v51, v45, vcc
	v_addc_co_u32_e32 v15, vcc, 0, v15, vcc
	v_add_co_u32_e32 v14, vcc, v33, v14
	v_addc_co_u32_e32 v15, vcc, 0, v15, vcc
	v_mul_lo_u32 v33, s53, v14
	v_mul_lo_u32 v44, s52, v15
	v_mad_u64_u32 v[14:15], s[2:3], s52, v14, 0
	v_add3_u32 v15, v15, v44, v33
	v_sub_u32_e32 v33, v48, v15
	v_mov_b32_e32 v44, s53
	v_sub_co_u32_e32 v14, vcc, v49, v14
	v_subb_co_u32_e64 v33, s[2:3], v33, v44, vcc
	v_subrev_co_u32_e64 v45, s[2:3], s52, v14
	v_subbrev_co_u32_e64 v46, s[4:5], 0, v33, s[2:3]
	v_cmp_le_u32_e64 s[4:5], s53, v46
	v_cndmask_b32_e64 v49, 0, -1, s[4:5]
	v_cmp_le_u32_e64 s[4:5], s52, v45
	v_subb_co_u32_e64 v33, s[2:3], v33, v44, s[2:3]
	v_cndmask_b32_e64 v50, 0, -1, s[4:5]
	v_cmp_eq_u32_e64 s[4:5], s53, v46
	v_subrev_co_u32_e64 v44, s[2:3], s52, v45
	v_cndmask_b32_e64 v49, v49, v50, s[4:5]
	v_subbrev_co_u32_e64 v33, s[2:3], 0, v33, s[2:3]
	v_subb_co_u32_e32 v15, vcc, v48, v15, vcc
	v_cmp_ne_u32_e64 s[2:3], 0, v49
	v_cmp_le_u32_e32 vcc, s53, v15
	v_cndmask_b32_e64 v33, v46, v33, s[2:3]
	v_cndmask_b32_e64 v46, 0, -1, vcc
	v_cmp_le_u32_e32 vcc, s52, v14
	v_cndmask_b32_e64 v48, 0, -1, vcc
	v_cmp_eq_u32_e32 vcc, s53, v15
	v_cndmask_b32_e32 v46, v46, v48, vcc
	v_cmp_ne_u32_e32 vcc, 0, v46
	v_cndmask_b32_e32 v15, v15, v33, vcc
	v_cndmask_b32_e64 v33, v45, v44, s[2:3]
	v_cndmask_b32_e32 v14, v14, v33, vcc
	v_xor_b32_e32 v14, v14, v47
	v_xor_b32_e32 v15, v15, v47
	v_sub_co_u32_e32 v14, vcc, v14, v47
	v_subb_co_u32_e32 v15, vcc, v15, v47, vcc
                                        ; implicit-def: $vgpr44_vgpr45
.LBB44_36:                              ;   in Loop: Header=BB44_9 Depth=1
	s_andn2_saveexec_b64 s[2:3], s[6:7]
	s_cbranch_execz .LBB44_38
; %bb.37:                               ;   in Loop: Header=BB44_9 Depth=1
	v_cvt_f32_u32_e32 v14, s22
	s_sub_i32 s4, 0, s22
	v_rcp_iflag_f32_e32 v14, v14
	v_mul_f32_e32 v14, 0x4f7ffffe, v14
	v_cvt_u32_f32_e32 v14, v14
	v_mul_lo_u32 v15, s4, v14
	v_mul_hi_u32 v15, v14, v15
	v_add_u32_e32 v14, v14, v15
	v_mul_hi_u32 v14, v44, v14
	v_mul_lo_u32 v14, v14, s22
	v_sub_u32_e32 v14, v44, v14
	v_subrev_u32_e32 v15, s22, v14
	v_cmp_le_u32_e32 vcc, s22, v14
	v_cndmask_b32_e32 v14, v14, v15, vcc
	v_subrev_u32_e32 v15, s22, v14
	v_cmp_le_u32_e32 vcc, s22, v14
	v_cndmask_b32_e32 v14, v14, v15, vcc
	v_mov_b32_e32 v15, v32
.LBB44_38:                              ;   in Loop: Header=BB44_9 Depth=1
	s_or_b64 exec, exec, s[2:3]
	s_and_b64 vcc, exec, s[0:1]
	s_cbranch_vccnz .LBB44_28
.LBB44_39:                              ;   in Loop: Header=BB44_9 Depth=1
	v_mad_u64_u32 v[44:45], s[2:3], s30, v40, v[28:29]
	v_mul_lo_u32 v16, s30, v41
	v_mul_lo_u32 v17, s31, v40
	v_add3_u32 v45, v17, v45, v16
	v_or_b32_e32 v33, s23, v45
	v_cmp_ne_u64_e32 vcc, 0, v[32:33]
                                        ; kill: def $vgpr16_vgpr17 killed $sgpr0_sgpr1 killed $exec
	s_and_saveexec_b64 s[2:3], vcc
	s_xor_b64 s[6:7], exec, s[2:3]
	s_cbranch_execz .LBB44_41
; %bb.40:                               ;   in Loop: Header=BB44_9 Depth=1
	s_ashr_i32 s2, s23, 31
	s_add_u32 s4, s22, s2
	s_mov_b32 s3, s2
	s_addc_u32 s5, s23, s2
	s_xor_b64 s[52:53], s[4:5], s[2:3]
	v_cvt_f32_u32_e32 v16, s52
	v_cvt_f32_u32_e32 v17, s53
	s_sub_u32 s2, 0, s52
	s_subb_u32 s3, 0, s53
	v_mac_f32_e32 v16, 0x4f800000, v17
	v_rcp_f32_e32 v16, v16
	v_mul_f32_e32 v16, 0x5f7ffffc, v16
	v_mul_f32_e32 v17, 0x2f800000, v16
	v_trunc_f32_e32 v17, v17
	v_mac_f32_e32 v16, 0xcf800000, v17
	v_cvt_u32_f32_e32 v17, v17
	v_cvt_u32_f32_e32 v16, v16
	v_mul_lo_u32 v33, s2, v17
	v_mul_hi_u32 v47, s2, v16
	v_mul_lo_u32 v46, s3, v16
	v_add_u32_e32 v33, v47, v33
	v_mul_lo_u32 v48, s2, v16
	v_add_u32_e32 v33, v33, v46
	v_mul_lo_u32 v47, v16, v33
	v_mul_hi_u32 v49, v16, v48
	v_mul_hi_u32 v46, v16, v33
	v_add_co_u32_e32 v47, vcc, v49, v47
	v_addc_co_u32_e32 v46, vcc, 0, v46, vcc
	v_mul_hi_u32 v50, v17, v48
	v_mul_lo_u32 v48, v17, v48
	v_add_co_u32_e32 v47, vcc, v47, v48
	v_mul_hi_u32 v49, v17, v33
	v_addc_co_u32_e32 v46, vcc, v46, v50, vcc
	v_addc_co_u32_e32 v47, vcc, 0, v49, vcc
	v_mul_lo_u32 v33, v17, v33
	v_add_co_u32_e32 v33, vcc, v46, v33
	v_addc_co_u32_e32 v46, vcc, 0, v47, vcc
	v_add_co_u32_e32 v16, vcc, v16, v33
	v_addc_co_u32_e32 v17, vcc, v17, v46, vcc
	v_mul_lo_u32 v33, s2, v17
	v_mul_hi_u32 v46, s2, v16
	v_add_u32_e32 v33, v46, v33
	v_mul_lo_u32 v46, s3, v16
	v_add_u32_e32 v33, v33, v46
	v_mul_lo_u32 v47, s2, v16
	v_mul_hi_u32 v48, v17, v47
	v_mul_lo_u32 v49, v17, v47
	v_mul_lo_u32 v51, v16, v33
	v_mul_hi_u32 v47, v16, v47
	v_mul_hi_u32 v50, v16, v33
	v_add_co_u32_e32 v47, vcc, v47, v51
	v_addc_co_u32_e32 v50, vcc, 0, v50, vcc
	v_add_co_u32_e32 v47, vcc, v47, v49
	v_mul_hi_u32 v46, v17, v33
	v_addc_co_u32_e32 v47, vcc, v50, v48, vcc
	v_addc_co_u32_e32 v46, vcc, 0, v46, vcc
	v_mul_lo_u32 v33, v17, v33
	v_add_co_u32_e32 v33, vcc, v47, v33
	v_addc_co_u32_e32 v46, vcc, 0, v46, vcc
	v_add_co_u32_e32 v33, vcc, v16, v33
	v_addc_co_u32_e32 v46, vcc, v17, v46, vcc
	v_ashrrev_i32_e32 v47, 31, v45
	v_add_co_u32_e32 v16, vcc, v44, v47
	v_addc_co_u32_e32 v17, vcc, v45, v47, vcc
	v_xor_b32_e32 v49, v16, v47
	v_xor_b32_e32 v48, v17, v47
	v_mad_u64_u32 v[16:17], s[2:3], v49, v46, 0
	v_mul_hi_u32 v44, v49, v33
	v_add_co_u32_e32 v50, vcc, v44, v16
	v_addc_co_u32_e32 v51, vcc, 0, v17, vcc
	v_mad_u64_u32 v[44:45], s[2:3], v48, v33, 0
	v_add_co_u32_e32 v33, vcc, v50, v44
	v_mad_u64_u32 v[16:17], s[2:3], v48, v46, 0
	v_addc_co_u32_e32 v33, vcc, v51, v45, vcc
	v_addc_co_u32_e32 v17, vcc, 0, v17, vcc
	v_add_co_u32_e32 v16, vcc, v33, v16
	v_addc_co_u32_e32 v17, vcc, 0, v17, vcc
	v_mul_lo_u32 v33, s53, v16
	v_mul_lo_u32 v44, s52, v17
	v_mad_u64_u32 v[16:17], s[2:3], s52, v16, 0
	v_add3_u32 v17, v17, v44, v33
	v_sub_u32_e32 v33, v48, v17
	v_mov_b32_e32 v44, s53
	v_sub_co_u32_e32 v16, vcc, v49, v16
	v_subb_co_u32_e64 v33, s[2:3], v33, v44, vcc
	v_subrev_co_u32_e64 v45, s[2:3], s52, v16
	v_subbrev_co_u32_e64 v46, s[4:5], 0, v33, s[2:3]
	v_cmp_le_u32_e64 s[4:5], s53, v46
	v_cndmask_b32_e64 v49, 0, -1, s[4:5]
	v_cmp_le_u32_e64 s[4:5], s52, v45
	v_subb_co_u32_e64 v33, s[2:3], v33, v44, s[2:3]
	v_cndmask_b32_e64 v50, 0, -1, s[4:5]
	v_cmp_eq_u32_e64 s[4:5], s53, v46
	v_subrev_co_u32_e64 v44, s[2:3], s52, v45
	v_cndmask_b32_e64 v49, v49, v50, s[4:5]
	v_subbrev_co_u32_e64 v33, s[2:3], 0, v33, s[2:3]
	v_subb_co_u32_e32 v17, vcc, v48, v17, vcc
	v_cmp_ne_u32_e64 s[2:3], 0, v49
	v_cmp_le_u32_e32 vcc, s53, v17
	v_cndmask_b32_e64 v33, v46, v33, s[2:3]
	v_cndmask_b32_e64 v46, 0, -1, vcc
	v_cmp_le_u32_e32 vcc, s52, v16
	v_cndmask_b32_e64 v48, 0, -1, vcc
	v_cmp_eq_u32_e32 vcc, s53, v17
	v_cndmask_b32_e32 v46, v46, v48, vcc
	v_cmp_ne_u32_e32 vcc, 0, v46
	v_cndmask_b32_e32 v17, v17, v33, vcc
	v_cndmask_b32_e64 v33, v45, v44, s[2:3]
	v_cndmask_b32_e32 v16, v16, v33, vcc
	v_xor_b32_e32 v16, v16, v47
	v_xor_b32_e32 v17, v17, v47
	v_sub_co_u32_e32 v16, vcc, v16, v47
	v_subb_co_u32_e32 v17, vcc, v17, v47, vcc
                                        ; implicit-def: $vgpr44_vgpr45
.LBB44_41:                              ;   in Loop: Header=BB44_9 Depth=1
	s_andn2_saveexec_b64 s[2:3], s[6:7]
	s_cbranch_execz .LBB44_43
; %bb.42:                               ;   in Loop: Header=BB44_9 Depth=1
	v_cvt_f32_u32_e32 v16, s22
	s_sub_i32 s4, 0, s22
	v_rcp_iflag_f32_e32 v16, v16
	v_mul_f32_e32 v16, 0x4f7ffffe, v16
	v_cvt_u32_f32_e32 v16, v16
	v_mul_lo_u32 v17, s4, v16
	v_mul_hi_u32 v17, v16, v17
	v_add_u32_e32 v16, v16, v17
	v_mul_hi_u32 v16, v44, v16
	v_mul_lo_u32 v16, v16, s22
	v_sub_u32_e32 v16, v44, v16
	v_subrev_u32_e32 v17, s22, v16
	v_cmp_le_u32_e32 vcc, s22, v16
	v_cndmask_b32_e32 v16, v16, v17, vcc
	v_subrev_u32_e32 v17, s22, v16
	v_cmp_le_u32_e32 vcc, s22, v16
	v_cndmask_b32_e32 v16, v16, v17, vcc
	v_mov_b32_e32 v17, v32
.LBB44_43:                              ;   in Loop: Header=BB44_9 Depth=1
	s_or_b64 exec, exec, s[2:3]
	s_and_b64 vcc, exec, s[0:1]
	s_cbranch_vccnz .LBB44_8
.LBB44_44:                              ;   in Loop: Header=BB44_9 Depth=1
	v_mad_u64_u32 v[44:45], s[0:1], s30, v42, v[0:1]
	v_mul_lo_u32 v18, s30, v43
	v_mul_lo_u32 v19, s31, v42
	v_add3_u32 v45, v19, v45, v18
	v_or_b32_e32 v33, s23, v45
	v_cmp_ne_u64_e32 vcc, 0, v[32:33]
                                        ; kill: def $vgpr18_vgpr19 killed $sgpr0_sgpr1 killed $exec
	s_and_saveexec_b64 s[0:1], vcc
	s_xor_b64 s[4:5], exec, s[0:1]
	s_cbranch_execz .LBB44_46
; %bb.45:                               ;   in Loop: Header=BB44_9 Depth=1
	s_ashr_i32 s0, s23, 31
	s_add_u32 s2, s22, s0
	s_mov_b32 s1, s0
	s_addc_u32 s3, s23, s0
	s_xor_b64 s[6:7], s[2:3], s[0:1]
	v_cvt_f32_u32_e32 v18, s6
	v_cvt_f32_u32_e32 v19, s7
	s_sub_u32 s0, 0, s6
	s_subb_u32 s1, 0, s7
	v_mac_f32_e32 v18, 0x4f800000, v19
	v_rcp_f32_e32 v18, v18
	v_mul_f32_e32 v18, 0x5f7ffffc, v18
	v_mul_f32_e32 v19, 0x2f800000, v18
	v_trunc_f32_e32 v19, v19
	v_mac_f32_e32 v18, 0xcf800000, v19
	v_cvt_u32_f32_e32 v19, v19
	v_cvt_u32_f32_e32 v18, v18
	v_mul_lo_u32 v33, s0, v19
	v_mul_hi_u32 v47, s0, v18
	v_mul_lo_u32 v46, s1, v18
	v_add_u32_e32 v33, v47, v33
	v_mul_lo_u32 v48, s0, v18
	v_add_u32_e32 v33, v33, v46
	v_mul_lo_u32 v47, v18, v33
	v_mul_hi_u32 v49, v18, v48
	v_mul_hi_u32 v46, v18, v33
	v_add_co_u32_e32 v47, vcc, v49, v47
	v_addc_co_u32_e32 v46, vcc, 0, v46, vcc
	v_mul_hi_u32 v50, v19, v48
	v_mul_lo_u32 v48, v19, v48
	v_add_co_u32_e32 v47, vcc, v47, v48
	v_mul_hi_u32 v49, v19, v33
	v_addc_co_u32_e32 v46, vcc, v46, v50, vcc
	v_addc_co_u32_e32 v47, vcc, 0, v49, vcc
	v_mul_lo_u32 v33, v19, v33
	v_add_co_u32_e32 v33, vcc, v46, v33
	v_addc_co_u32_e32 v46, vcc, 0, v47, vcc
	v_add_co_u32_e32 v18, vcc, v18, v33
	v_addc_co_u32_e32 v19, vcc, v19, v46, vcc
	v_mul_lo_u32 v33, s0, v19
	v_mul_hi_u32 v46, s0, v18
	v_add_u32_e32 v33, v46, v33
	v_mul_lo_u32 v46, s1, v18
	v_add_u32_e32 v33, v33, v46
	v_mul_lo_u32 v47, s0, v18
	v_mul_hi_u32 v48, v19, v47
	v_mul_lo_u32 v49, v19, v47
	v_mul_lo_u32 v51, v18, v33
	v_mul_hi_u32 v47, v18, v47
	v_mul_hi_u32 v50, v18, v33
	v_add_co_u32_e32 v47, vcc, v47, v51
	v_addc_co_u32_e32 v50, vcc, 0, v50, vcc
	v_add_co_u32_e32 v47, vcc, v47, v49
	v_mul_hi_u32 v46, v19, v33
	v_addc_co_u32_e32 v47, vcc, v50, v48, vcc
	v_addc_co_u32_e32 v46, vcc, 0, v46, vcc
	v_mul_lo_u32 v33, v19, v33
	v_add_co_u32_e32 v33, vcc, v47, v33
	v_addc_co_u32_e32 v46, vcc, 0, v46, vcc
	v_add_co_u32_e32 v33, vcc, v18, v33
	v_addc_co_u32_e32 v46, vcc, v19, v46, vcc
	v_ashrrev_i32_e32 v47, 31, v45
	v_add_co_u32_e32 v18, vcc, v44, v47
	v_addc_co_u32_e32 v19, vcc, v45, v47, vcc
	v_xor_b32_e32 v49, v18, v47
	v_xor_b32_e32 v48, v19, v47
	v_mad_u64_u32 v[18:19], s[0:1], v49, v46, 0
	v_mul_hi_u32 v44, v49, v33
	v_add_co_u32_e32 v50, vcc, v44, v18
	v_addc_co_u32_e32 v51, vcc, 0, v19, vcc
	v_mad_u64_u32 v[44:45], s[0:1], v48, v33, 0
	v_add_co_u32_e32 v33, vcc, v50, v44
	v_mad_u64_u32 v[18:19], s[0:1], v48, v46, 0
	v_addc_co_u32_e32 v33, vcc, v51, v45, vcc
	v_addc_co_u32_e32 v19, vcc, 0, v19, vcc
	v_add_co_u32_e32 v18, vcc, v33, v18
	v_addc_co_u32_e32 v19, vcc, 0, v19, vcc
	v_mul_lo_u32 v33, s7, v18
	v_mul_lo_u32 v44, s6, v19
	v_mad_u64_u32 v[18:19], s[0:1], s6, v18, 0
	v_add3_u32 v19, v19, v44, v33
	v_sub_u32_e32 v33, v48, v19
	v_mov_b32_e32 v44, s7
	v_sub_co_u32_e32 v18, vcc, v49, v18
	v_subb_co_u32_e64 v33, s[0:1], v33, v44, vcc
	v_subrev_co_u32_e64 v45, s[0:1], s6, v18
	v_subbrev_co_u32_e64 v46, s[2:3], 0, v33, s[0:1]
	v_cmp_le_u32_e64 s[2:3], s7, v46
	v_cndmask_b32_e64 v49, 0, -1, s[2:3]
	v_cmp_le_u32_e64 s[2:3], s6, v45
	v_subb_co_u32_e64 v33, s[0:1], v33, v44, s[0:1]
	v_cndmask_b32_e64 v50, 0, -1, s[2:3]
	v_cmp_eq_u32_e64 s[2:3], s7, v46
	v_subrev_co_u32_e64 v44, s[0:1], s6, v45
	v_cndmask_b32_e64 v49, v49, v50, s[2:3]
	v_subbrev_co_u32_e64 v33, s[0:1], 0, v33, s[0:1]
	v_subb_co_u32_e32 v19, vcc, v48, v19, vcc
	v_cmp_ne_u32_e64 s[0:1], 0, v49
	v_cmp_le_u32_e32 vcc, s7, v19
	v_cndmask_b32_e64 v33, v46, v33, s[0:1]
	v_cndmask_b32_e64 v46, 0, -1, vcc
	v_cmp_le_u32_e32 vcc, s6, v18
	v_cndmask_b32_e64 v48, 0, -1, vcc
	v_cmp_eq_u32_e32 vcc, s7, v19
	v_cndmask_b32_e32 v46, v46, v48, vcc
	v_cmp_ne_u32_e32 vcc, 0, v46
	v_cndmask_b32_e32 v19, v19, v33, vcc
	v_cndmask_b32_e64 v33, v45, v44, s[0:1]
	v_cndmask_b32_e32 v18, v18, v33, vcc
	v_xor_b32_e32 v18, v18, v47
	v_xor_b32_e32 v19, v19, v47
	v_sub_co_u32_e32 v18, vcc, v18, v47
	v_subb_co_u32_e32 v19, vcc, v19, v47, vcc
                                        ; implicit-def: $vgpr44_vgpr45
.LBB44_46:                              ;   in Loop: Header=BB44_9 Depth=1
	s_andn2_saveexec_b64 s[0:1], s[4:5]
	s_cbranch_execz .LBB44_7
; %bb.47:                               ;   in Loop: Header=BB44_9 Depth=1
	v_cvt_f32_u32_e32 v18, s22
	s_sub_i32 s2, 0, s22
	v_rcp_iflag_f32_e32 v18, v18
	v_mul_f32_e32 v18, 0x4f7ffffe, v18
	v_cvt_u32_f32_e32 v18, v18
	v_mul_lo_u32 v19, s2, v18
	v_mul_hi_u32 v19, v18, v19
	v_add_u32_e32 v18, v18, v19
	v_mul_hi_u32 v18, v44, v18
	v_mul_lo_u32 v18, v18, s22
	v_sub_u32_e32 v18, v44, v18
	v_subrev_u32_e32 v19, s22, v18
	v_cmp_le_u32_e32 vcc, s22, v18
	v_cndmask_b32_e32 v18, v18, v19, vcc
	v_subrev_u32_e32 v19, s22, v18
	v_cmp_le_u32_e32 vcc, s22, v18
	v_cndmask_b32_e32 v18, v18, v19, vcc
	v_mov_b32_e32 v19, v32
	s_branch .LBB44_7
.LBB44_48:
	s_or_b64 exec, exec, s[46:47]
	v_mad_u64_u32 v[2:3], s[0:1], v22, s20, v[2:3]
	v_mul_lo_u32 v0, v22, s21
	v_mul_lo_u32 v1, v23, s20
	v_cmp_ne_u64_e32 vcc, v[20:21], v[22:23]
	v_add3_u32 v3, v1, v3, v0
	s_and_b64 s[0:1], vcc, exec
.LBB44_49:
	s_or_saveexec_b64 s[2:3], s[26:27]
	v_pk_mov_b32 v[0:1], s[30:31], s[30:31] op_sel:[0,1]
	v_pk_mov_b32 v[4:5], s[36:37], s[36:37] op_sel:[0,1]
	s_xor_b64 exec, exec, s[2:3]
; %bb.50:
	s_sub_u32 s4, 0, s8
	s_subb_u32 s5, 0, s9
	s_lshl_b64 s[6:7], s[20:21], 1
	v_pk_mov_b32 v[0:1], s[4:5], s[4:5] op_sel:[0,1]
	v_pk_mov_b32 v[4:5], s[6:7], s[6:7] op_sel:[0,1]
	s_or_b64 s[0:1], s[0:1], exec
; %bb.51:
	s_or_b64 exec, exec, s[2:3]
	s_and_b64 exec, exec, s[0:1]
	s_cbranch_execz .LBB44_64
; %bb.52:
	v_lshlrev_b64 v[6:7], 1, v[2:3]
	s_sub_u32 s26, 0, s18
	v_mov_b32_e32 v8, s15
	v_add_co_u32_e32 v6, vcc, s14, v6
	s_mov_b64 s[4:5], 0
	s_subb_u32 s27, 0, s19
	v_addc_co_u32_e32 v7, vcc, v8, v7, vcc
	v_mov_b32_e32 v8, 0
	s_ashr_i32 s6, s9, 31
	s_sub_i32 s28, 0, s8
	s_branch .LBB44_55
.LBB44_53:                              ;   in Loop: Header=BB44_55 Depth=1
	s_or_b64 exec, exec, s[0:1]
	v_ashrrev_i32_e32 v9, 31, v15
	v_and_b32_e32 v13, s23, v9
	v_and_b32_e32 v9, s22, v9
	v_add_co_u32_e32 v12, vcc, v9, v14
	v_addc_co_u32_e32 v13, vcc, v13, v15, vcc
	v_mov_b32_e32 v9, s23
	v_sub_co_u32_e32 v14, vcc, s22, v12
	v_subb_co_u32_e32 v9, vcc, v9, v13, vcc
	v_cmp_gt_i64_e32 vcc, s[16:17], v[12:13]
	v_cndmask_b32_e32 v13, v9, v13, vcc
	v_cndmask_b32_e32 v12, v14, v12, vcc
.LBB44_54:                              ;   in Loop: Header=BB44_55 Depth=1
	v_mul_lo_u32 v9, v11, s16
	v_mul_lo_u32 v14, v10, s17
	v_mad_u64_u32 v[10:11], s[0:1], v10, s16, 0
	v_add3_u32 v11, v11, v14, v9
	v_lshlrev_b64 v[10:11], 1, v[10:11]
	v_mov_b32_e32 v9, s13
	v_add_co_u32_e32 v14, vcc, s12, v10
	v_addc_co_u32_e32 v9, vcc, v9, v11, vcc
	v_lshlrev_b64 v[10:11], 1, v[12:13]
	v_add_co_u32_e32 v10, vcc, v14, v10
	v_addc_co_u32_e32 v11, vcc, v9, v11, vcc
	global_load_ushort v9, v[10:11], off
	v_mov_b32_e32 v10, s21
	v_add_co_u32_e32 v2, vcc, s20, v2
	v_addc_co_u32_e32 v3, vcc, v3, v10, vcc
	v_cmp_le_i64_e32 vcc, s[10:11], v[2:3]
	s_or_b64 s[4:5], vcc, s[4:5]
	s_waitcnt vmcnt(0)
	global_store_short v[6:7], v9, off
	v_add_co_u32_e32 v6, vcc, v6, v4
	v_addc_co_u32_e32 v7, vcc, v7, v5, vcc
	s_andn2_b64 exec, exec, s[4:5]
	s_cbranch_execz .LBB44_64
.LBB44_55:                              ; =>This Inner Loop Header: Depth=1
	v_or_b32_e32 v9, s9, v3
	v_cmp_ne_u64_e32 vcc, 0, v[8:9]
                                        ; implicit-def: $vgpr10_vgpr11
	s_and_saveexec_b64 s[0:1], vcc
	s_xor_b64 s[2:3], exec, s[0:1]
	s_cbranch_execnz .LBB44_58
; %bb.56:                               ;   in Loop: Header=BB44_55 Depth=1
	s_andn2_saveexec_b64 s[0:1], s[2:3]
	s_cbranch_execnz .LBB44_59
.LBB44_57:                              ;   in Loop: Header=BB44_55 Depth=1
	s_or_b64 exec, exec, s[0:1]
	s_andn2_b64 vcc, exec, s[24:25]
	v_pk_mov_b32 v[12:13], 0, 0
	s_cbranch_vccnz .LBB44_54
	s_branch .LBB44_60
.LBB44_58:                              ;   in Loop: Header=BB44_55 Depth=1
	s_add_u32 s0, s8, s6
	s_mov_b32 s7, s6
	s_addc_u32 s1, s9, s6
	s_xor_b64 s[14:15], s[0:1], s[6:7]
	v_cvt_f32_u32_e32 v9, s14
	v_cvt_f32_u32_e32 v10, s15
	s_sub_u32 s0, 0, s14
	s_subb_u32 s1, 0, s15
	v_mac_f32_e32 v9, 0x4f800000, v10
	v_rcp_f32_e32 v9, v9
	v_mul_f32_e32 v9, 0x5f7ffffc, v9
	v_mul_f32_e32 v10, 0x2f800000, v9
	v_trunc_f32_e32 v10, v10
	v_mac_f32_e32 v9, 0xcf800000, v10
	v_cvt_u32_f32_e32 v10, v10
	v_cvt_u32_f32_e32 v9, v9
	v_mul_lo_u32 v11, s0, v10
	v_mul_hi_u32 v13, s0, v9
	v_mul_lo_u32 v12, s1, v9
	v_add_u32_e32 v11, v13, v11
	v_mul_lo_u32 v14, s0, v9
	v_add_u32_e32 v11, v11, v12
	v_mul_lo_u32 v13, v9, v11
	v_mul_hi_u32 v15, v9, v14
	v_mul_hi_u32 v12, v9, v11
	v_add_co_u32_e32 v13, vcc, v15, v13
	v_addc_co_u32_e32 v12, vcc, 0, v12, vcc
	v_mul_hi_u32 v16, v10, v14
	v_mul_lo_u32 v14, v10, v14
	v_add_co_u32_e32 v13, vcc, v13, v14
	v_mul_hi_u32 v15, v10, v11
	v_addc_co_u32_e32 v12, vcc, v12, v16, vcc
	v_addc_co_u32_e32 v13, vcc, 0, v15, vcc
	v_mul_lo_u32 v11, v10, v11
	v_add_co_u32_e32 v11, vcc, v12, v11
	v_addc_co_u32_e32 v12, vcc, 0, v13, vcc
	v_add_co_u32_e32 v9, vcc, v9, v11
	v_addc_co_u32_e32 v10, vcc, v10, v12, vcc
	v_mul_lo_u32 v11, s0, v10
	v_mul_hi_u32 v12, s0, v9
	v_add_u32_e32 v11, v12, v11
	v_mul_lo_u32 v12, s1, v9
	v_add_u32_e32 v11, v11, v12
	v_mul_lo_u32 v13, s0, v9
	v_mul_hi_u32 v14, v10, v13
	v_mul_lo_u32 v15, v10, v13
	v_mul_lo_u32 v17, v9, v11
	v_mul_hi_u32 v13, v9, v13
	v_mul_hi_u32 v16, v9, v11
	v_add_co_u32_e32 v13, vcc, v13, v17
	v_addc_co_u32_e32 v16, vcc, 0, v16, vcc
	v_add_co_u32_e32 v13, vcc, v13, v15
	v_mul_hi_u32 v12, v10, v11
	v_addc_co_u32_e32 v13, vcc, v16, v14, vcc
	v_addc_co_u32_e32 v12, vcc, 0, v12, vcc
	v_mul_lo_u32 v11, v10, v11
	v_add_co_u32_e32 v11, vcc, v13, v11
	v_addc_co_u32_e32 v12, vcc, 0, v12, vcc
	v_add_co_u32_e32 v9, vcc, v9, v11
	v_addc_co_u32_e32 v12, vcc, v10, v12, vcc
	v_ashrrev_i32_e32 v14, 31, v3
	v_add_co_u32_e32 v10, vcc, v2, v14
	v_addc_co_u32_e32 v11, vcc, v3, v14, vcc
	v_xor_b32_e32 v16, v10, v14
	v_xor_b32_e32 v15, v11, v14
	v_mad_u64_u32 v[10:11], s[0:1], v16, v12, 0
	v_mul_hi_u32 v13, v16, v9
	v_add_co_u32_e32 v17, vcc, v13, v10
	v_addc_co_u32_e32 v18, vcc, 0, v11, vcc
	v_mad_u64_u32 v[10:11], s[0:1], v15, v12, 0
	v_mad_u64_u32 v[12:13], s[0:1], v15, v9, 0
	v_add_co_u32_e32 v9, vcc, v17, v12
	v_addc_co_u32_e32 v9, vcc, v18, v13, vcc
	v_addc_co_u32_e32 v11, vcc, 0, v11, vcc
	v_add_co_u32_e32 v9, vcc, v9, v10
	v_addc_co_u32_e32 v12, vcc, 0, v11, vcc
	v_mul_lo_u32 v13, s15, v9
	v_mul_lo_u32 v17, s14, v12
	v_mad_u64_u32 v[10:11], s[0:1], s14, v9, 0
	v_add3_u32 v11, v11, v17, v13
	v_sub_u32_e32 v13, v15, v11
	v_mov_b32_e32 v17, s15
	v_sub_co_u32_e32 v10, vcc, v16, v10
	v_subb_co_u32_e64 v13, s[0:1], v13, v17, vcc
	v_subrev_co_u32_e64 v16, s[0:1], s14, v10
	v_subbrev_co_u32_e64 v13, s[0:1], 0, v13, s[0:1]
	v_cmp_le_u32_e64 s[0:1], s15, v13
	v_cndmask_b32_e64 v17, 0, -1, s[0:1]
	v_cmp_le_u32_e64 s[0:1], s14, v16
	v_cndmask_b32_e64 v16, 0, -1, s[0:1]
	v_cmp_eq_u32_e64 s[0:1], s15, v13
	v_cndmask_b32_e64 v13, v17, v16, s[0:1]
	v_add_co_u32_e64 v16, s[0:1], 2, v9
	v_subb_co_u32_e32 v11, vcc, v15, v11, vcc
	v_addc_co_u32_e64 v17, s[0:1], 0, v12, s[0:1]
	v_cmp_le_u32_e32 vcc, s15, v11
	v_add_co_u32_e64 v18, s[0:1], 1, v9
	v_cndmask_b32_e64 v15, 0, -1, vcc
	v_cmp_le_u32_e32 vcc, s14, v10
	v_addc_co_u32_e64 v19, s[0:1], 0, v12, s[0:1]
	v_cndmask_b32_e64 v10, 0, -1, vcc
	v_cmp_eq_u32_e32 vcc, s15, v11
	v_cmp_ne_u32_e64 s[0:1], 0, v13
	v_cndmask_b32_e32 v10, v15, v10, vcc
	v_cmp_ne_u32_e32 vcc, 0, v10
	v_cndmask_b32_e64 v11, v18, v16, s[0:1]
	v_cndmask_b32_e64 v13, v19, v17, s[0:1]
	v_cndmask_b32_e32 v9, v9, v11, vcc
	v_xor_b32_e32 v11, s6, v14
	v_cndmask_b32_e32 v10, v12, v13, vcc
	v_xor_b32_e32 v9, v9, v11
	v_xor_b32_e32 v12, v10, v11
	v_sub_co_u32_e32 v10, vcc, v9, v11
	v_subb_co_u32_e32 v11, vcc, v12, v11, vcc
	s_andn2_saveexec_b64 s[0:1], s[2:3]
	s_cbranch_execz .LBB44_57
.LBB44_59:                              ;   in Loop: Header=BB44_55 Depth=1
	v_cvt_f32_u32_e32 v9, s8
	v_rcp_iflag_f32_e32 v9, v9
	v_mul_f32_e32 v9, 0x4f7ffffe, v9
	v_cvt_u32_f32_e32 v9, v9
	v_mul_lo_u32 v10, s28, v9
	v_mul_hi_u32 v10, v9, v10
	v_add_u32_e32 v9, v9, v10
	v_mul_hi_u32 v9, v2, v9
	v_mul_lo_u32 v10, v9, s8
	v_sub_u32_e32 v10, v2, v10
	v_add_u32_e32 v11, 1, v9
	v_subrev_u32_e32 v12, s8, v10
	v_cmp_le_u32_e32 vcc, s8, v10
	v_cndmask_b32_e32 v10, v10, v12, vcc
	v_cndmask_b32_e32 v9, v9, v11, vcc
	v_add_u32_e32 v11, 1, v9
	v_cmp_le_u32_e32 vcc, s8, v10
	v_cndmask_b32_e32 v10, v9, v11, vcc
	v_mov_b32_e32 v11, v8
	s_or_b64 exec, exec, s[0:1]
	s_andn2_b64 vcc, exec, s[24:25]
	v_pk_mov_b32 v[12:13], 0, 0
	s_cbranch_vccnz .LBB44_54
.LBB44_60:                              ;   in Loop: Header=BB44_55 Depth=1
	v_mov_b32_e32 v9, s27
	v_add_co_u32_e32 v12, vcc, s26, v2
	v_addc_co_u32_e32 v13, vcc, v9, v3, vcc
	v_mul_lo_u32 v9, v0, v11
	v_mul_lo_u32 v14, v1, v10
	v_mad_u64_u32 v[12:13], s[0:1], v0, v10, v[12:13]
	v_add3_u32 v13, v14, v13, v9
	v_or_b32_e32 v9, s23, v13
	v_cmp_ne_u64_e32 vcc, 0, v[8:9]
                                        ; implicit-def: $vgpr14_vgpr15
	s_and_saveexec_b64 s[0:1], vcc
	s_xor_b64 s[14:15], exec, s[0:1]
	s_cbranch_execz .LBB44_62
; %bb.61:                               ;   in Loop: Header=BB44_55 Depth=1
	s_ashr_i32 s0, s23, 31
	s_add_u32 s2, s22, s0
	s_mov_b32 s1, s0
	s_addc_u32 s3, s23, s0
	s_xor_b64 s[18:19], s[2:3], s[0:1]
	v_cvt_f32_u32_e32 v9, s18
	v_cvt_f32_u32_e32 v14, s19
	s_sub_u32 s0, 0, s18
	s_subb_u32 s1, 0, s19
	v_mac_f32_e32 v9, 0x4f800000, v14
	v_rcp_f32_e32 v9, v9
	v_mul_f32_e32 v9, 0x5f7ffffc, v9
	v_mul_f32_e32 v14, 0x2f800000, v9
	v_trunc_f32_e32 v14, v14
	v_mac_f32_e32 v9, 0xcf800000, v14
	v_cvt_u32_f32_e32 v14, v14
	v_cvt_u32_f32_e32 v9, v9
	v_mul_lo_u32 v15, s0, v14
	v_mul_hi_u32 v17, s0, v9
	v_mul_lo_u32 v16, s1, v9
	v_add_u32_e32 v15, v17, v15
	v_mul_lo_u32 v18, s0, v9
	v_add_u32_e32 v15, v15, v16
	v_mul_lo_u32 v17, v9, v15
	v_mul_hi_u32 v19, v9, v18
	v_mul_hi_u32 v16, v9, v15
	v_add_co_u32_e32 v17, vcc, v19, v17
	v_addc_co_u32_e32 v16, vcc, 0, v16, vcc
	v_mul_hi_u32 v20, v14, v18
	v_mul_lo_u32 v18, v14, v18
	v_add_co_u32_e32 v17, vcc, v17, v18
	v_mul_hi_u32 v19, v14, v15
	v_addc_co_u32_e32 v16, vcc, v16, v20, vcc
	v_addc_co_u32_e32 v17, vcc, 0, v19, vcc
	v_mul_lo_u32 v15, v14, v15
	v_add_co_u32_e32 v15, vcc, v16, v15
	v_addc_co_u32_e32 v16, vcc, 0, v17, vcc
	v_add_co_u32_e32 v9, vcc, v9, v15
	v_addc_co_u32_e32 v14, vcc, v14, v16, vcc
	v_mul_lo_u32 v15, s0, v14
	v_mul_hi_u32 v16, s0, v9
	v_add_u32_e32 v15, v16, v15
	v_mul_lo_u32 v16, s1, v9
	v_add_u32_e32 v15, v15, v16
	v_mul_lo_u32 v17, s0, v9
	v_mul_hi_u32 v18, v14, v17
	v_mul_lo_u32 v19, v14, v17
	v_mul_lo_u32 v21, v9, v15
	v_mul_hi_u32 v17, v9, v17
	v_mul_hi_u32 v20, v9, v15
	v_add_co_u32_e32 v17, vcc, v17, v21
	v_addc_co_u32_e32 v20, vcc, 0, v20, vcc
	v_add_co_u32_e32 v17, vcc, v17, v19
	v_mul_hi_u32 v16, v14, v15
	v_addc_co_u32_e32 v17, vcc, v20, v18, vcc
	v_addc_co_u32_e32 v16, vcc, 0, v16, vcc
	v_mul_lo_u32 v15, v14, v15
	v_add_co_u32_e32 v15, vcc, v17, v15
	v_addc_co_u32_e32 v16, vcc, 0, v16, vcc
	v_add_co_u32_e32 v9, vcc, v9, v15
	v_addc_co_u32_e32 v14, vcc, v14, v16, vcc
	v_ashrrev_i32_e32 v16, 31, v13
	v_add_co_u32_e32 v12, vcc, v12, v16
	v_addc_co_u32_e32 v13, vcc, v13, v16, vcc
	v_xor_b32_e32 v18, v12, v16
	v_xor_b32_e32 v17, v13, v16
	v_mad_u64_u32 v[12:13], s[0:1], v18, v14, 0
	v_mul_hi_u32 v15, v18, v9
	v_add_co_u32_e32 v19, vcc, v15, v12
	v_addc_co_u32_e32 v20, vcc, 0, v13, vcc
	v_mad_u64_u32 v[12:13], s[0:1], v17, v14, 0
	v_mad_u64_u32 v[14:15], s[0:1], v17, v9, 0
	v_add_co_u32_e32 v9, vcc, v19, v14
	v_addc_co_u32_e32 v9, vcc, v20, v15, vcc
	v_addc_co_u32_e32 v13, vcc, 0, v13, vcc
	v_add_co_u32_e32 v9, vcc, v9, v12
	v_addc_co_u32_e32 v12, vcc, 0, v13, vcc
	v_mul_lo_u32 v14, s19, v9
	v_mul_lo_u32 v15, s18, v12
	v_mad_u64_u32 v[12:13], s[0:1], s18, v9, 0
	v_add3_u32 v9, v13, v15, v14
	v_sub_u32_e32 v13, v17, v9
	v_mov_b32_e32 v14, s19
	v_sub_co_u32_e32 v12, vcc, v18, v12
	v_subb_co_u32_e64 v13, s[0:1], v13, v14, vcc
	v_subrev_co_u32_e64 v15, s[0:1], s18, v12
	v_subbrev_co_u32_e64 v18, s[2:3], 0, v13, s[0:1]
	v_cmp_le_u32_e64 s[2:3], s19, v18
	v_cndmask_b32_e64 v19, 0, -1, s[2:3]
	v_cmp_le_u32_e64 s[2:3], s18, v15
	v_subb_co_u32_e64 v13, s[0:1], v13, v14, s[0:1]
	v_cndmask_b32_e64 v20, 0, -1, s[2:3]
	v_cmp_eq_u32_e64 s[2:3], s19, v18
	v_subrev_co_u32_e64 v14, s[0:1], s18, v15
	v_subb_co_u32_e32 v9, vcc, v17, v9, vcc
	v_cndmask_b32_e64 v19, v19, v20, s[2:3]
	v_subbrev_co_u32_e64 v13, s[0:1], 0, v13, s[0:1]
	v_cmp_le_u32_e32 vcc, s19, v9
	v_cmp_ne_u32_e64 s[0:1], 0, v19
	v_cndmask_b32_e64 v17, 0, -1, vcc
	v_cmp_le_u32_e32 vcc, s18, v12
	v_cndmask_b32_e64 v13, v18, v13, s[0:1]
	v_cndmask_b32_e64 v18, 0, -1, vcc
	v_cmp_eq_u32_e32 vcc, s19, v9
	v_cndmask_b32_e32 v17, v17, v18, vcc
	v_cmp_ne_u32_e32 vcc, 0, v17
	v_cndmask_b32_e32 v9, v9, v13, vcc
	v_cndmask_b32_e64 v13, v15, v14, s[0:1]
	v_cndmask_b32_e32 v12, v12, v13, vcc
	v_xor_b32_e32 v12, v12, v16
	v_xor_b32_e32 v9, v9, v16
	v_sub_co_u32_e32 v14, vcc, v12, v16
	v_subb_co_u32_e32 v15, vcc, v9, v16, vcc
                                        ; implicit-def: $vgpr12_vgpr13
.LBB44_62:                              ;   in Loop: Header=BB44_55 Depth=1
	s_andn2_saveexec_b64 s[0:1], s[14:15]
	s_cbranch_execz .LBB44_53
; %bb.63:                               ;   in Loop: Header=BB44_55 Depth=1
	v_cvt_f32_u32_e32 v9, s22
	s_sub_i32 s2, 0, s22
	v_mov_b32_e32 v15, v8
	v_rcp_iflag_f32_e32 v9, v9
	v_mul_f32_e32 v9, 0x4f7ffffe, v9
	v_cvt_u32_f32_e32 v9, v9
	v_mul_lo_u32 v13, s2, v9
	v_mul_hi_u32 v13, v9, v13
	v_add_u32_e32 v9, v9, v13
	v_mul_hi_u32 v9, v12, v9
	v_mul_lo_u32 v9, v9, s22
	v_sub_u32_e32 v9, v12, v9
	v_subrev_u32_e32 v12, s22, v9
	v_cmp_le_u32_e32 vcc, s22, v9
	v_cndmask_b32_e32 v9, v9, v12, vcc
	v_subrev_u32_e32 v12, s22, v9
	v_cmp_le_u32_e32 vcc, s22, v9
	v_cndmask_b32_e32 v14, v9, v12, vcc
	s_branch .LBB44_53
.LBB44_64:
	s_endpgm
	.section	.rodata,"a",@progbits
	.p2align	6, 0x0
	.amdhsa_kernel _ZN2at6native12_GLOBAL__N_121reflection_pad1d_flatIN3c108BFloat16EEEvPKT_PS5_lllll
		.amdhsa_group_segment_fixed_size 0
		.amdhsa_private_segment_fixed_size 0
		.amdhsa_kernarg_size 312
		.amdhsa_user_sgpr_count 6
		.amdhsa_user_sgpr_private_segment_buffer 1
		.amdhsa_user_sgpr_dispatch_ptr 0
		.amdhsa_user_sgpr_queue_ptr 0
		.amdhsa_user_sgpr_kernarg_segment_ptr 1
		.amdhsa_user_sgpr_dispatch_id 0
		.amdhsa_user_sgpr_flat_scratch_init 0
		.amdhsa_user_sgpr_kernarg_preload_length 0
		.amdhsa_user_sgpr_kernarg_preload_offset 0
		.amdhsa_user_sgpr_private_segment_size 0
		.amdhsa_uses_dynamic_stack 0
		.amdhsa_system_sgpr_private_segment_wavefront_offset 0
		.amdhsa_system_sgpr_workgroup_id_x 1
		.amdhsa_system_sgpr_workgroup_id_y 0
		.amdhsa_system_sgpr_workgroup_id_z 0
		.amdhsa_system_sgpr_workgroup_info 0
		.amdhsa_system_vgpr_workitem_id 0
		.amdhsa_next_free_vgpr 52
		.amdhsa_next_free_sgpr 67
		.amdhsa_accum_offset 52
		.amdhsa_reserve_vcc 1
		.amdhsa_reserve_flat_scratch 0
		.amdhsa_float_round_mode_32 0
		.amdhsa_float_round_mode_16_64 0
		.amdhsa_float_denorm_mode_32 3
		.amdhsa_float_denorm_mode_16_64 3
		.amdhsa_dx10_clamp 1
		.amdhsa_ieee_mode 1
		.amdhsa_fp16_overflow 0
		.amdhsa_tg_split 0
		.amdhsa_exception_fp_ieee_invalid_op 0
		.amdhsa_exception_fp_denorm_src 0
		.amdhsa_exception_fp_ieee_div_zero 0
		.amdhsa_exception_fp_ieee_overflow 0
		.amdhsa_exception_fp_ieee_underflow 0
		.amdhsa_exception_fp_ieee_inexact 0
		.amdhsa_exception_int_div_zero 0
	.end_amdhsa_kernel
	.section	.text._ZN2at6native12_GLOBAL__N_121reflection_pad1d_flatIN3c108BFloat16EEEvPKT_PS5_lllll,"axG",@progbits,_ZN2at6native12_GLOBAL__N_121reflection_pad1d_flatIN3c108BFloat16EEEvPKT_PS5_lllll,comdat
.Lfunc_end44:
	.size	_ZN2at6native12_GLOBAL__N_121reflection_pad1d_flatIN3c108BFloat16EEEvPKT_PS5_lllll, .Lfunc_end44-_ZN2at6native12_GLOBAL__N_121reflection_pad1d_flatIN3c108BFloat16EEEvPKT_PS5_lllll
                                        ; -- End function
	.section	.AMDGPU.csdata,"",@progbits
; Kernel info:
; codeLenInByte = 10628
; NumSgprs: 71
; NumVgprs: 52
; NumAgprs: 0
; TotalNumVgprs: 52
; ScratchSize: 0
; MemoryBound: 0
; FloatMode: 240
; IeeeMode: 1
; LDSByteSize: 0 bytes/workgroup (compile time only)
; SGPRBlocks: 8
; VGPRBlocks: 6
; NumSGPRsForWavesPerEU: 71
; NumVGPRsForWavesPerEU: 52
; AccumOffset: 52
; Occupancy: 8
; WaveLimiterHint : 0
; COMPUTE_PGM_RSRC2:SCRATCH_EN: 0
; COMPUTE_PGM_RSRC2:USER_SGPR: 6
; COMPUTE_PGM_RSRC2:TRAP_HANDLER: 0
; COMPUTE_PGM_RSRC2:TGID_X_EN: 1
; COMPUTE_PGM_RSRC2:TGID_Y_EN: 0
; COMPUTE_PGM_RSRC2:TGID_Z_EN: 0
; COMPUTE_PGM_RSRC2:TIDIG_COMP_CNT: 0
; COMPUTE_PGM_RSRC3_GFX90A:ACCUM_OFFSET: 12
; COMPUTE_PGM_RSRC3_GFX90A:TG_SPLIT: 0
	.section	.text._ZN2at6native12_GLOBAL__N_136reflection_pad1d_backward_out_kernelIdEEvPT_PKS3_lll,"axG",@progbits,_ZN2at6native12_GLOBAL__N_136reflection_pad1d_backward_out_kernelIdEEvPT_PKS3_lll,comdat
	.globl	_ZN2at6native12_GLOBAL__N_136reflection_pad1d_backward_out_kernelIdEEvPT_PKS3_lll ; -- Begin function _ZN2at6native12_GLOBAL__N_136reflection_pad1d_backward_out_kernelIdEEvPT_PKS3_lll
	.p2align	8
	.type	_ZN2at6native12_GLOBAL__N_136reflection_pad1d_backward_out_kernelIdEEvPT_PKS3_lll,@function
_ZN2at6native12_GLOBAL__N_136reflection_pad1d_backward_out_kernelIdEEvPT_PKS3_lll: ; @_ZN2at6native12_GLOBAL__N_136reflection_pad1d_backward_out_kernelIdEEvPT_PKS3_lll
; %bb.0:
	s_load_dword s9, s[4:5], 0x34
	s_load_dwordx2 s[0:1], s[4:5], 0x20
	s_load_dwordx8 s[12:19], s[4:5], 0x0
	s_add_u32 s2, s4, 40
	s_addc_u32 s3, s5, 0
	s_waitcnt lgkmcnt(0)
	s_and_b32 s4, s9, 0xffff
	v_mov_b32_e32 v1, 0
	v_mov_b32_e32 v2, s6
	v_mad_u64_u32 v[0:1], s[4:5], s4, v2, v[0:1]
	s_add_u32 s4, s18, s16
	s_addc_u32 s5, s19, s17
	s_add_u32 s0, s4, s0
	s_addc_u32 s1, s5, s1
	v_cmp_gt_i64_e32 vcc, s[0:1], v[0:1]
	s_and_saveexec_b64 s[10:11], vcc
	s_cbranch_execz .LBB45_2
; %bb.1:
	s_load_dword s6, s[2:3], 0x4
	s_sub_u32 s2, 0, s18
	s_subb_u32 s3, 0, s19
	v_lshlrev_b64 v[2:3], 3, v[0:1]
	s_waitcnt lgkmcnt(0)
	s_mul_i32 s6, s6, s8
	s_add_i32 s8, s6, s7
	s_mul_i32 s7, s8, s17
	s_mul_hi_u32 s9, s8, s16
	s_add_i32 s7, s9, s7
	s_mul_i32 s1, s1, s8
	s_mul_hi_u32 s9, s0, s8
	s_mul_i32 s6, s8, s16
	s_add_i32 s1, s9, s1
	s_mul_i32 s0, s0, s8
	v_cmp_gt_i64_e64 s[8:9], s[2:3], 0
	s_and_b64 s[8:9], s[8:9], exec
	s_cselect_b32 s8, s3, 0
	s_cselect_b32 s9, s2, 0
	v_cmp_gt_i64_e64 s[2:3], s[18:19], 0
	s_and_b64 s[2:3], s[2:3], exec
	s_cselect_b32 s3, s19, 0
	s_cselect_b32 s2, s18, 0
	s_not_b64 s[2:3], s[2:3]
	s_add_u32 s10, s4, s18
	s_addc_u32 s11, s5, s19
	s_add_u32 s2, s10, s2
	s_addc_u32 s3, s11, s3
	;; [unrolled: 2-line block ×3, first 2 shown]
	s_lshl_b64 s[2:3], s[6:7], 3
	s_lshl_b64 s[0:1], s[0:1], 3
	s_add_u32 s0, s14, s0
	s_addc_u32 s1, s15, s1
	v_mov_b32_e32 v4, s1
	v_add_co_u32_e32 v2, vcc, s0, v2
	v_addc_co_u32_e32 v3, vcc, v4, v3, vcc
	global_load_dwordx2 v[2:3], v[2:3], off
	v_mov_b32_e32 v4, s19
	v_subrev_co_u32_e32 v5, vcc, s18, v0
	v_subb_co_u32_e32 v4, vcc, v1, v4, vcc
	v_ashrrev_i32_e32 v6, 31, v4
	v_xor_b32_e32 v7, v4, v6
	v_xor_b32_e32 v4, v5, v6
	v_sub_co_u32_e32 v4, vcc, v4, v6
	v_subb_co_u32_e32 v5, vcc, v7, v6, vcc
	v_mov_b32_e32 v6, s5
	v_subrev_co_u32_e32 v7, vcc, s4, v0
	v_subb_co_u32_e32 v6, vcc, v1, v6, vcc
	v_add_co_u32_e32 v7, vcc, 1, v7
	v_addc_co_u32_e32 v6, vcc, 0, v6, vcc
	v_ashrrev_i32_e32 v8, 31, v6
	v_xor_b32_e32 v7, v7, v8
	v_xor_b32_e32 v6, v6, v8
	v_sub_co_u32_e32 v7, vcc, v7, v8
	v_subb_co_u32_e32 v6, vcc, v6, v8, vcc
	v_add_co_u32_e32 v0, vcc, v0, v7
	v_addc_co_u32_e32 v1, vcc, v1, v6, vcc
	v_mov_b32_e32 v6, s8
	v_sub_co_u32_e32 v0, vcc, s9, v0
	v_subb_co_u32_e32 v1, vcc, v6, v1, vcc
	v_lshlrev_b64 v[0:1], 3, v[0:1]
	v_mov_b32_e32 v6, s13
	v_add_co_u32_e32 v7, vcc, s12, v0
	v_addc_co_u32_e32 v6, vcc, v6, v1, vcc
	v_lshlrev_b64 v[0:1], 3, v[4:5]
	v_add_co_u32_e32 v0, vcc, v7, v0
	v_addc_co_u32_e32 v1, vcc, v6, v1, vcc
	v_mov_b32_e32 v4, s3
	v_add_co_u32_e32 v0, vcc, s2, v0
	v_addc_co_u32_e32 v1, vcc, v1, v4, vcc
	s_waitcnt vmcnt(0)
	global_atomic_add_f64 v[0:1], v[2:3], off
.LBB45_2:
	s_endpgm
	.section	.rodata,"a",@progbits
	.p2align	6, 0x0
	.amdhsa_kernel _ZN2at6native12_GLOBAL__N_136reflection_pad1d_backward_out_kernelIdEEvPT_PKS3_lll
		.amdhsa_group_segment_fixed_size 0
		.amdhsa_private_segment_fixed_size 0
		.amdhsa_kernarg_size 296
		.amdhsa_user_sgpr_count 6
		.amdhsa_user_sgpr_private_segment_buffer 1
		.amdhsa_user_sgpr_dispatch_ptr 0
		.amdhsa_user_sgpr_queue_ptr 0
		.amdhsa_user_sgpr_kernarg_segment_ptr 1
		.amdhsa_user_sgpr_dispatch_id 0
		.amdhsa_user_sgpr_flat_scratch_init 0
		.amdhsa_user_sgpr_kernarg_preload_length 0
		.amdhsa_user_sgpr_kernarg_preload_offset 0
		.amdhsa_user_sgpr_private_segment_size 0
		.amdhsa_uses_dynamic_stack 0
		.amdhsa_system_sgpr_private_segment_wavefront_offset 0
		.amdhsa_system_sgpr_workgroup_id_x 1
		.amdhsa_system_sgpr_workgroup_id_y 1
		.amdhsa_system_sgpr_workgroup_id_z 1
		.amdhsa_system_sgpr_workgroup_info 0
		.amdhsa_system_vgpr_workitem_id 0
		.amdhsa_next_free_vgpr 9
		.amdhsa_next_free_sgpr 20
		.amdhsa_accum_offset 12
		.amdhsa_reserve_vcc 1
		.amdhsa_reserve_flat_scratch 0
		.amdhsa_float_round_mode_32 0
		.amdhsa_float_round_mode_16_64 0
		.amdhsa_float_denorm_mode_32 3
		.amdhsa_float_denorm_mode_16_64 3
		.amdhsa_dx10_clamp 1
		.amdhsa_ieee_mode 1
		.amdhsa_fp16_overflow 0
		.amdhsa_tg_split 0
		.amdhsa_exception_fp_ieee_invalid_op 0
		.amdhsa_exception_fp_denorm_src 0
		.amdhsa_exception_fp_ieee_div_zero 0
		.amdhsa_exception_fp_ieee_overflow 0
		.amdhsa_exception_fp_ieee_underflow 0
		.amdhsa_exception_fp_ieee_inexact 0
		.amdhsa_exception_int_div_zero 0
	.end_amdhsa_kernel
	.section	.text._ZN2at6native12_GLOBAL__N_136reflection_pad1d_backward_out_kernelIdEEvPT_PKS3_lll,"axG",@progbits,_ZN2at6native12_GLOBAL__N_136reflection_pad1d_backward_out_kernelIdEEvPT_PKS3_lll,comdat
.Lfunc_end45:
	.size	_ZN2at6native12_GLOBAL__N_136reflection_pad1d_backward_out_kernelIdEEvPT_PKS3_lll, .Lfunc_end45-_ZN2at6native12_GLOBAL__N_136reflection_pad1d_backward_out_kernelIdEEvPT_PKS3_lll
                                        ; -- End function
	.section	.AMDGPU.csdata,"",@progbits
; Kernel info:
; codeLenInByte = 416
; NumSgprs: 24
; NumVgprs: 9
; NumAgprs: 0
; TotalNumVgprs: 9
; ScratchSize: 0
; MemoryBound: 0
; FloatMode: 240
; IeeeMode: 1
; LDSByteSize: 0 bytes/workgroup (compile time only)
; SGPRBlocks: 2
; VGPRBlocks: 1
; NumSGPRsForWavesPerEU: 24
; NumVGPRsForWavesPerEU: 9
; AccumOffset: 12
; Occupancy: 8
; WaveLimiterHint : 0
; COMPUTE_PGM_RSRC2:SCRATCH_EN: 0
; COMPUTE_PGM_RSRC2:USER_SGPR: 6
; COMPUTE_PGM_RSRC2:TRAP_HANDLER: 0
; COMPUTE_PGM_RSRC2:TGID_X_EN: 1
; COMPUTE_PGM_RSRC2:TGID_Y_EN: 1
; COMPUTE_PGM_RSRC2:TGID_Z_EN: 1
; COMPUTE_PGM_RSRC2:TIDIG_COMP_CNT: 0
; COMPUTE_PGM_RSRC3_GFX90A:ACCUM_OFFSET: 2
; COMPUTE_PGM_RSRC3_GFX90A:TG_SPLIT: 0
	.section	.text._ZN2at6native12_GLOBAL__N_130reflection_pad1d_backward_flatIdEEvPT_PKS3_llll,"axG",@progbits,_ZN2at6native12_GLOBAL__N_130reflection_pad1d_backward_flatIdEEvPT_PKS3_llll,comdat
	.globl	_ZN2at6native12_GLOBAL__N_130reflection_pad1d_backward_flatIdEEvPT_PKS3_llll ; -- Begin function _ZN2at6native12_GLOBAL__N_130reflection_pad1d_backward_flatIdEEvPT_PKS3_llll
	.p2align	8
	.type	_ZN2at6native12_GLOBAL__N_130reflection_pad1d_backward_flatIdEEvPT_PKS3_llll,@function
_ZN2at6native12_GLOBAL__N_130reflection_pad1d_backward_flatIdEEvPT_PKS3_llll: ; @_ZN2at6native12_GLOBAL__N_130reflection_pad1d_backward_flatIdEEvPT_PKS3_llll
; %bb.0:
	s_load_dword s2, s[4:5], 0x3c
	s_load_dwordx8 s[8:15], s[4:5], 0x10
	s_add_u32 s0, s4, 48
	v_mov_b32_e32 v2, 0
	s_addc_u32 s1, s5, 0
	s_waitcnt lgkmcnt(0)
	s_and_b32 s2, s2, 0xffff
	s_mul_i32 s3, s14, s13
	s_mul_hi_u32 s7, s14, s12
	v_mov_b32_e32 v1, v2
	s_add_i32 s3, s7, s3
	s_mul_i32 s7, s15, s12
	v_mov_b32_e32 v3, s6
	s_add_i32 s15, s3, s7
	s_mul_i32 s14, s14, s12
	v_mad_u64_u32 v[0:1], s[6:7], s2, v3, v[0:1]
	v_cmp_gt_i64_e32 vcc, s[14:15], v[0:1]
	s_and_saveexec_b64 s[6:7], vcc
	s_cbranch_execz .LBB46_13
; %bb.1:
	v_cvt_f32_u32_e32 v3, s12
	s_load_dword s3, s[0:1], 0x0
	s_load_dwordx4 s[16:19], s[4:5], 0x0
	s_lshl_b64 s[0:1], s[8:9], 1
	s_add_u32 s4, s0, -2
	v_rcp_iflag_f32_e32 v3, v3
	s_addc_u32 s5, s1, -1
	s_sub_u32 s28, 0, s12
	s_subb_u32 s29, 0, s13
	v_mul_f32_e32 v3, 0x4f7ffffe, v3
	v_cvt_u32_f32_e32 v12, v3
	v_lshlrev_b64 v[4:5], 3, v[0:1]
	s_waitcnt lgkmcnt(0)
	s_mul_hi_u32 s7, s2, s3
	s_mul_i32 s6, s2, s3
	s_sub_u32 s30, 0, s10
	v_mov_b32_e32 v6, s19
	v_add_co_u32_e32 v4, vcc, s18, v4
	s_mov_b64 s[20:21], 0
	v_cmp_gt_i64_e64 s[22:23], s[4:5], 0
	s_subb_u32 s31, 0, s11
	v_addc_co_u32_e32 v5, vcc, v6, v5, vcc
	s_lshl_b64 s[10:11], s[6:7], 3
	s_ashr_i32 s18, s13, 31
	s_branch .LBB46_4
.LBB46_2:                               ;   in Loop: Header=BB46_4 Depth=1
	s_or_b64 exec, exec, s[0:1]
	v_ashrrev_i32_e32 v3, 31, v11
	v_and_b32_e32 v9, s5, v3
	v_and_b32_e32 v3, s4, v3
	v_add_co_u32_e32 v8, vcc, v3, v10
	v_addc_co_u32_e32 v9, vcc, v9, v11, vcc
	v_mov_b32_e32 v3, s5
	v_sub_co_u32_e32 v10, vcc, s4, v8
	v_subb_co_u32_e32 v3, vcc, v3, v9, vcc
	v_cmp_gt_i64_e32 vcc, s[8:9], v[8:9]
	v_cndmask_b32_e32 v9, v3, v9, vcc
	v_cndmask_b32_e32 v8, v10, v8, vcc
.LBB46_3:                               ;   in Loop: Header=BB46_4 Depth=1
	global_load_dwordx2 v[10:11], v[4:5], off
	v_mul_lo_u32 v3, v7, s8
	v_mul_lo_u32 v13, v6, s9
	v_mad_u64_u32 v[6:7], s[0:1], v6, s8, 0
	v_add3_u32 v7, v7, v13, v3
	v_lshlrev_b64 v[6:7], 3, v[6:7]
	v_mov_b32_e32 v3, s17
	v_add_co_u32_e32 v13, vcc, s16, v6
	v_addc_co_u32_e32 v3, vcc, v3, v7, vcc
	v_lshlrev_b64 v[6:7], 3, v[8:9]
	v_add_co_u32_e32 v6, vcc, v13, v6
	v_addc_co_u32_e32 v7, vcc, v3, v7, vcc
	v_mov_b32_e32 v3, s7
	v_add_co_u32_e32 v0, vcc, s6, v0
	v_addc_co_u32_e32 v1, vcc, v1, v3, vcc
	v_cmp_le_i64_e32 vcc, s[14:15], v[0:1]
	v_mov_b32_e32 v3, s11
	s_or_b64 s[20:21], vcc, s[20:21]
	v_add_co_u32_e32 v4, vcc, s10, v4
	v_addc_co_u32_e32 v5, vcc, v5, v3, vcc
	s_waitcnt vmcnt(0)
	global_atomic_add_f64 v[6:7], v[10:11], off
	s_andn2_b64 exec, exec, s[20:21]
	s_cbranch_execz .LBB46_13
.LBB46_4:                               ; =>This Inner Loop Header: Depth=1
	v_or_b32_e32 v3, s13, v1
	v_cmp_ne_u64_e32 vcc, 0, v[2:3]
                                        ; implicit-def: $vgpr6_vgpr7
	s_and_saveexec_b64 s[0:1], vcc
	s_xor_b64 s[2:3], exec, s[0:1]
	s_cbranch_execnz .LBB46_7
; %bb.5:                                ;   in Loop: Header=BB46_4 Depth=1
	s_andn2_saveexec_b64 s[0:1], s[2:3]
	s_cbranch_execnz .LBB46_8
.LBB46_6:                               ;   in Loop: Header=BB46_4 Depth=1
	s_or_b64 exec, exec, s[0:1]
	s_andn2_b64 vcc, exec, s[22:23]
	v_pk_mov_b32 v[8:9], 0, 0
	s_cbranch_vccnz .LBB46_3
	s_branch .LBB46_9
.LBB46_7:                               ;   in Loop: Header=BB46_4 Depth=1
	s_add_u32 s0, s12, s18
	s_mov_b32 s19, s18
	s_addc_u32 s1, s13, s18
	s_xor_b64 s[24:25], s[0:1], s[18:19]
	v_cvt_f32_u32_e32 v3, s24
	v_cvt_f32_u32_e32 v6, s25
	s_sub_u32 s0, 0, s24
	s_subb_u32 s1, 0, s25
	v_mac_f32_e32 v3, 0x4f800000, v6
	v_rcp_f32_e32 v3, v3
	v_mul_f32_e32 v3, 0x5f7ffffc, v3
	v_mul_f32_e32 v6, 0x2f800000, v3
	v_trunc_f32_e32 v6, v6
	v_mac_f32_e32 v3, 0xcf800000, v6
	v_cvt_u32_f32_e32 v6, v6
	v_cvt_u32_f32_e32 v3, v3
	v_mul_lo_u32 v7, s0, v6
	v_mul_hi_u32 v9, s0, v3
	v_mul_lo_u32 v8, s1, v3
	v_add_u32_e32 v7, v9, v7
	v_mul_lo_u32 v10, s0, v3
	v_add_u32_e32 v7, v7, v8
	v_mul_lo_u32 v9, v3, v7
	v_mul_hi_u32 v11, v3, v10
	v_mul_hi_u32 v8, v3, v7
	v_add_co_u32_e32 v9, vcc, v11, v9
	v_addc_co_u32_e32 v8, vcc, 0, v8, vcc
	v_mul_hi_u32 v13, v6, v10
	v_mul_lo_u32 v10, v6, v10
	v_add_co_u32_e32 v9, vcc, v9, v10
	v_mul_hi_u32 v11, v6, v7
	v_addc_co_u32_e32 v8, vcc, v8, v13, vcc
	v_addc_co_u32_e32 v9, vcc, 0, v11, vcc
	v_mul_lo_u32 v7, v6, v7
	v_add_co_u32_e32 v7, vcc, v8, v7
	v_addc_co_u32_e32 v8, vcc, 0, v9, vcc
	v_add_co_u32_e32 v3, vcc, v3, v7
	v_addc_co_u32_e32 v6, vcc, v6, v8, vcc
	v_mul_lo_u32 v7, s0, v6
	v_mul_hi_u32 v8, s0, v3
	v_add_u32_e32 v7, v8, v7
	v_mul_lo_u32 v8, s1, v3
	v_add_u32_e32 v7, v7, v8
	v_mul_lo_u32 v9, s0, v3
	v_mul_hi_u32 v10, v6, v9
	v_mul_lo_u32 v11, v6, v9
	v_mul_lo_u32 v14, v3, v7
	v_mul_hi_u32 v9, v3, v9
	v_mul_hi_u32 v13, v3, v7
	v_add_co_u32_e32 v9, vcc, v9, v14
	v_addc_co_u32_e32 v13, vcc, 0, v13, vcc
	v_add_co_u32_e32 v9, vcc, v9, v11
	v_mul_hi_u32 v8, v6, v7
	v_addc_co_u32_e32 v9, vcc, v13, v10, vcc
	v_addc_co_u32_e32 v8, vcc, 0, v8, vcc
	v_mul_lo_u32 v7, v6, v7
	v_add_co_u32_e32 v7, vcc, v9, v7
	v_addc_co_u32_e32 v8, vcc, 0, v8, vcc
	v_add_co_u32_e32 v3, vcc, v3, v7
	v_addc_co_u32_e32 v8, vcc, v6, v8, vcc
	v_ashrrev_i32_e32 v10, 31, v1
	v_add_co_u32_e32 v6, vcc, v0, v10
	v_addc_co_u32_e32 v7, vcc, v1, v10, vcc
	v_xor_b32_e32 v13, v6, v10
	v_xor_b32_e32 v11, v7, v10
	v_mad_u64_u32 v[6:7], s[0:1], v13, v8, 0
	v_mul_hi_u32 v9, v13, v3
	v_add_co_u32_e32 v14, vcc, v9, v6
	v_addc_co_u32_e32 v15, vcc, 0, v7, vcc
	v_mad_u64_u32 v[6:7], s[0:1], v11, v8, 0
	v_mad_u64_u32 v[8:9], s[0:1], v11, v3, 0
	v_add_co_u32_e32 v3, vcc, v14, v8
	v_addc_co_u32_e32 v3, vcc, v15, v9, vcc
	v_addc_co_u32_e32 v7, vcc, 0, v7, vcc
	v_add_co_u32_e32 v3, vcc, v3, v6
	v_addc_co_u32_e32 v8, vcc, 0, v7, vcc
	v_mul_lo_u32 v9, s25, v3
	v_mul_lo_u32 v14, s24, v8
	v_mad_u64_u32 v[6:7], s[0:1], s24, v3, 0
	v_add3_u32 v7, v7, v14, v9
	v_sub_u32_e32 v9, v11, v7
	v_mov_b32_e32 v14, s25
	v_sub_co_u32_e32 v6, vcc, v13, v6
	v_subb_co_u32_e64 v9, s[0:1], v9, v14, vcc
	v_subrev_co_u32_e64 v13, s[0:1], s24, v6
	v_subbrev_co_u32_e64 v9, s[0:1], 0, v9, s[0:1]
	v_cmp_le_u32_e64 s[0:1], s25, v9
	v_cndmask_b32_e64 v14, 0, -1, s[0:1]
	v_cmp_le_u32_e64 s[0:1], s24, v13
	v_cndmask_b32_e64 v13, 0, -1, s[0:1]
	v_cmp_eq_u32_e64 s[0:1], s25, v9
	v_cndmask_b32_e64 v9, v14, v13, s[0:1]
	v_add_co_u32_e64 v13, s[0:1], 2, v3
	v_subb_co_u32_e32 v7, vcc, v11, v7, vcc
	v_addc_co_u32_e64 v14, s[0:1], 0, v8, s[0:1]
	v_cmp_le_u32_e32 vcc, s25, v7
	v_add_co_u32_e64 v15, s[0:1], 1, v3
	v_cndmask_b32_e64 v11, 0, -1, vcc
	v_cmp_le_u32_e32 vcc, s24, v6
	v_addc_co_u32_e64 v16, s[0:1], 0, v8, s[0:1]
	v_cndmask_b32_e64 v6, 0, -1, vcc
	v_cmp_eq_u32_e32 vcc, s25, v7
	v_cmp_ne_u32_e64 s[0:1], 0, v9
	v_cndmask_b32_e32 v6, v11, v6, vcc
	v_cmp_ne_u32_e32 vcc, 0, v6
	v_cndmask_b32_e64 v7, v15, v13, s[0:1]
	v_cndmask_b32_e64 v9, v16, v14, s[0:1]
	v_cndmask_b32_e32 v3, v3, v7, vcc
	v_xor_b32_e32 v7, s18, v10
	v_cndmask_b32_e32 v6, v8, v9, vcc
	v_xor_b32_e32 v3, v3, v7
	v_xor_b32_e32 v8, v6, v7
	v_sub_co_u32_e32 v6, vcc, v3, v7
	v_subb_co_u32_e32 v7, vcc, v8, v7, vcc
	s_andn2_saveexec_b64 s[0:1], s[2:3]
	s_cbranch_execz .LBB46_6
.LBB46_8:                               ;   in Loop: Header=BB46_4 Depth=1
	s_sub_i32 s2, 0, s12
	v_mul_lo_u32 v3, s2, v12
	v_mul_hi_u32 v3, v12, v3
	v_add_u32_e32 v3, v12, v3
	v_mul_hi_u32 v3, v0, v3
	v_mul_lo_u32 v6, v3, s12
	v_sub_u32_e32 v6, v0, v6
	v_subrev_u32_e32 v7, s12, v6
	v_cmp_le_u32_e32 vcc, s12, v6
	v_cndmask_b32_e32 v6, v6, v7, vcc
	v_add_u32_e32 v7, 1, v3
	v_cndmask_b32_e32 v3, v3, v7, vcc
	v_add_u32_e32 v7, 1, v3
	v_cmp_le_u32_e32 vcc, s12, v6
	v_cndmask_b32_e32 v6, v3, v7, vcc
	v_mov_b32_e32 v7, v2
	s_or_b64 exec, exec, s[0:1]
	s_andn2_b64 vcc, exec, s[22:23]
	v_pk_mov_b32 v[8:9], 0, 0
	s_cbranch_vccnz .LBB46_3
.LBB46_9:                               ;   in Loop: Header=BB46_4 Depth=1
	v_mov_b32_e32 v3, s31
	v_add_co_u32_e32 v8, vcc, s30, v0
	v_addc_co_u32_e32 v9, vcc, v3, v1, vcc
	v_mul_lo_u32 v3, s28, v7
	v_mul_lo_u32 v10, s29, v6
	v_mad_u64_u32 v[8:9], s[0:1], s28, v6, v[8:9]
	v_add3_u32 v9, v10, v9, v3
	v_or_b32_e32 v3, s5, v9
	v_cmp_ne_u64_e32 vcc, 0, v[2:3]
                                        ; implicit-def: $vgpr10_vgpr11
	s_and_saveexec_b64 s[0:1], vcc
	s_xor_b64 s[24:25], exec, s[0:1]
	s_cbranch_execz .LBB46_11
; %bb.10:                               ;   in Loop: Header=BB46_4 Depth=1
	s_ashr_i32 s0, s5, 31
	s_add_u32 s2, s4, s0
	s_mov_b32 s1, s0
	s_addc_u32 s3, s5, s0
	s_xor_b64 s[26:27], s[2:3], s[0:1]
	v_cvt_f32_u32_e32 v3, s26
	v_cvt_f32_u32_e32 v10, s27
	s_sub_u32 s0, 0, s26
	s_subb_u32 s1, 0, s27
	v_mac_f32_e32 v3, 0x4f800000, v10
	v_rcp_f32_e32 v3, v3
	v_mul_f32_e32 v3, 0x5f7ffffc, v3
	v_mul_f32_e32 v10, 0x2f800000, v3
	v_trunc_f32_e32 v10, v10
	v_mac_f32_e32 v3, 0xcf800000, v10
	v_cvt_u32_f32_e32 v10, v10
	v_cvt_u32_f32_e32 v3, v3
	v_mul_lo_u32 v11, s0, v10
	v_mul_hi_u32 v14, s0, v3
	v_mul_lo_u32 v13, s1, v3
	v_add_u32_e32 v11, v14, v11
	v_mul_lo_u32 v15, s0, v3
	v_add_u32_e32 v11, v11, v13
	v_mul_lo_u32 v14, v3, v11
	v_mul_hi_u32 v16, v3, v15
	v_mul_hi_u32 v13, v3, v11
	v_add_co_u32_e32 v14, vcc, v16, v14
	v_addc_co_u32_e32 v13, vcc, 0, v13, vcc
	v_mul_hi_u32 v17, v10, v15
	v_mul_lo_u32 v15, v10, v15
	v_add_co_u32_e32 v14, vcc, v14, v15
	v_mul_hi_u32 v16, v10, v11
	v_addc_co_u32_e32 v13, vcc, v13, v17, vcc
	v_addc_co_u32_e32 v14, vcc, 0, v16, vcc
	v_mul_lo_u32 v11, v10, v11
	v_add_co_u32_e32 v11, vcc, v13, v11
	v_addc_co_u32_e32 v13, vcc, 0, v14, vcc
	v_add_co_u32_e32 v3, vcc, v3, v11
	v_addc_co_u32_e32 v10, vcc, v10, v13, vcc
	v_mul_lo_u32 v11, s0, v10
	v_mul_hi_u32 v13, s0, v3
	v_add_u32_e32 v11, v13, v11
	v_mul_lo_u32 v13, s1, v3
	v_add_u32_e32 v11, v11, v13
	v_mul_lo_u32 v14, s0, v3
	v_mul_hi_u32 v15, v10, v14
	v_mul_lo_u32 v16, v10, v14
	v_mul_lo_u32 v18, v3, v11
	v_mul_hi_u32 v14, v3, v14
	v_mul_hi_u32 v17, v3, v11
	v_add_co_u32_e32 v14, vcc, v14, v18
	v_addc_co_u32_e32 v17, vcc, 0, v17, vcc
	v_add_co_u32_e32 v14, vcc, v14, v16
	v_mul_hi_u32 v13, v10, v11
	v_addc_co_u32_e32 v14, vcc, v17, v15, vcc
	v_addc_co_u32_e32 v13, vcc, 0, v13, vcc
	v_mul_lo_u32 v11, v10, v11
	v_add_co_u32_e32 v11, vcc, v14, v11
	v_addc_co_u32_e32 v13, vcc, 0, v13, vcc
	v_add_co_u32_e32 v3, vcc, v3, v11
	v_addc_co_u32_e32 v10, vcc, v10, v13, vcc
	v_ashrrev_i32_e32 v13, 31, v9
	v_add_co_u32_e32 v8, vcc, v8, v13
	v_addc_co_u32_e32 v9, vcc, v9, v13, vcc
	v_xor_b32_e32 v15, v8, v13
	v_xor_b32_e32 v14, v9, v13
	v_mad_u64_u32 v[8:9], s[0:1], v15, v10, 0
	v_mul_hi_u32 v11, v15, v3
	v_add_co_u32_e32 v16, vcc, v11, v8
	v_addc_co_u32_e32 v17, vcc, 0, v9, vcc
	v_mad_u64_u32 v[8:9], s[0:1], v14, v10, 0
	v_mad_u64_u32 v[10:11], s[0:1], v14, v3, 0
	v_add_co_u32_e32 v3, vcc, v16, v10
	v_addc_co_u32_e32 v3, vcc, v17, v11, vcc
	v_addc_co_u32_e32 v9, vcc, 0, v9, vcc
	v_add_co_u32_e32 v3, vcc, v3, v8
	v_addc_co_u32_e32 v8, vcc, 0, v9, vcc
	v_mul_lo_u32 v10, s27, v3
	v_mul_lo_u32 v11, s26, v8
	v_mad_u64_u32 v[8:9], s[0:1], s26, v3, 0
	v_add3_u32 v3, v9, v11, v10
	v_sub_u32_e32 v9, v14, v3
	v_mov_b32_e32 v10, s27
	v_sub_co_u32_e32 v8, vcc, v15, v8
	v_subb_co_u32_e64 v9, s[0:1], v9, v10, vcc
	v_subrev_co_u32_e64 v11, s[0:1], s26, v8
	v_subbrev_co_u32_e64 v15, s[2:3], 0, v9, s[0:1]
	v_cmp_le_u32_e64 s[2:3], s27, v15
	v_cndmask_b32_e64 v16, 0, -1, s[2:3]
	v_cmp_le_u32_e64 s[2:3], s26, v11
	v_subb_co_u32_e64 v9, s[0:1], v9, v10, s[0:1]
	v_cndmask_b32_e64 v17, 0, -1, s[2:3]
	v_cmp_eq_u32_e64 s[2:3], s27, v15
	v_subrev_co_u32_e64 v10, s[0:1], s26, v11
	v_subb_co_u32_e32 v3, vcc, v14, v3, vcc
	v_cndmask_b32_e64 v16, v16, v17, s[2:3]
	v_subbrev_co_u32_e64 v9, s[0:1], 0, v9, s[0:1]
	v_cmp_le_u32_e32 vcc, s27, v3
	v_cmp_ne_u32_e64 s[0:1], 0, v16
	v_cndmask_b32_e64 v14, 0, -1, vcc
	v_cmp_le_u32_e32 vcc, s26, v8
	v_cndmask_b32_e64 v9, v15, v9, s[0:1]
	v_cndmask_b32_e64 v15, 0, -1, vcc
	v_cmp_eq_u32_e32 vcc, s27, v3
	v_cndmask_b32_e32 v14, v14, v15, vcc
	v_cmp_ne_u32_e32 vcc, 0, v14
	v_cndmask_b32_e32 v3, v3, v9, vcc
	v_cndmask_b32_e64 v9, v11, v10, s[0:1]
	v_cndmask_b32_e32 v8, v8, v9, vcc
	v_xor_b32_e32 v8, v8, v13
	v_xor_b32_e32 v3, v3, v13
	v_sub_co_u32_e32 v10, vcc, v8, v13
	v_subb_co_u32_e32 v11, vcc, v3, v13, vcc
                                        ; implicit-def: $vgpr8_vgpr9
.LBB46_11:                              ;   in Loop: Header=BB46_4 Depth=1
	s_andn2_saveexec_b64 s[0:1], s[24:25]
	s_cbranch_execz .LBB46_2
; %bb.12:                               ;   in Loop: Header=BB46_4 Depth=1
	v_cvt_f32_u32_e32 v3, s4
	s_sub_i32 s2, 0, s4
	v_mov_b32_e32 v11, v2
	v_rcp_iflag_f32_e32 v3, v3
	v_mul_f32_e32 v3, 0x4f7ffffe, v3
	v_cvt_u32_f32_e32 v3, v3
	v_mul_lo_u32 v9, s2, v3
	v_mul_hi_u32 v9, v3, v9
	v_add_u32_e32 v3, v3, v9
	v_mul_hi_u32 v3, v8, v3
	v_mul_lo_u32 v3, v3, s4
	v_sub_u32_e32 v3, v8, v3
	v_subrev_u32_e32 v8, s4, v3
	v_cmp_le_u32_e32 vcc, s4, v3
	v_cndmask_b32_e32 v3, v3, v8, vcc
	v_subrev_u32_e32 v8, s4, v3
	v_cmp_le_u32_e32 vcc, s4, v3
	v_cndmask_b32_e32 v10, v3, v8, vcc
	s_branch .LBB46_2
.LBB46_13:
	s_endpgm
	.section	.rodata,"a",@progbits
	.p2align	6, 0x0
	.amdhsa_kernel _ZN2at6native12_GLOBAL__N_130reflection_pad1d_backward_flatIdEEvPT_PKS3_llll
		.amdhsa_group_segment_fixed_size 0
		.amdhsa_private_segment_fixed_size 0
		.amdhsa_kernarg_size 304
		.amdhsa_user_sgpr_count 6
		.amdhsa_user_sgpr_private_segment_buffer 1
		.amdhsa_user_sgpr_dispatch_ptr 0
		.amdhsa_user_sgpr_queue_ptr 0
		.amdhsa_user_sgpr_kernarg_segment_ptr 1
		.amdhsa_user_sgpr_dispatch_id 0
		.amdhsa_user_sgpr_flat_scratch_init 0
		.amdhsa_user_sgpr_kernarg_preload_length 0
		.amdhsa_user_sgpr_kernarg_preload_offset 0
		.amdhsa_user_sgpr_private_segment_size 0
		.amdhsa_uses_dynamic_stack 0
		.amdhsa_system_sgpr_private_segment_wavefront_offset 0
		.amdhsa_system_sgpr_workgroup_id_x 1
		.amdhsa_system_sgpr_workgroup_id_y 0
		.amdhsa_system_sgpr_workgroup_id_z 0
		.amdhsa_system_sgpr_workgroup_info 0
		.amdhsa_system_vgpr_workitem_id 0
		.amdhsa_next_free_vgpr 19
		.amdhsa_next_free_sgpr 32
		.amdhsa_accum_offset 20
		.amdhsa_reserve_vcc 1
		.amdhsa_reserve_flat_scratch 0
		.amdhsa_float_round_mode_32 0
		.amdhsa_float_round_mode_16_64 0
		.amdhsa_float_denorm_mode_32 3
		.amdhsa_float_denorm_mode_16_64 3
		.amdhsa_dx10_clamp 1
		.amdhsa_ieee_mode 1
		.amdhsa_fp16_overflow 0
		.amdhsa_tg_split 0
		.amdhsa_exception_fp_ieee_invalid_op 0
		.amdhsa_exception_fp_denorm_src 0
		.amdhsa_exception_fp_ieee_div_zero 0
		.amdhsa_exception_fp_ieee_overflow 0
		.amdhsa_exception_fp_ieee_underflow 0
		.amdhsa_exception_fp_ieee_inexact 0
		.amdhsa_exception_int_div_zero 0
	.end_amdhsa_kernel
	.section	.text._ZN2at6native12_GLOBAL__N_130reflection_pad1d_backward_flatIdEEvPT_PKS3_llll,"axG",@progbits,_ZN2at6native12_GLOBAL__N_130reflection_pad1d_backward_flatIdEEvPT_PKS3_llll,comdat
.Lfunc_end46:
	.size	_ZN2at6native12_GLOBAL__N_130reflection_pad1d_backward_flatIdEEvPT_PKS3_llll, .Lfunc_end46-_ZN2at6native12_GLOBAL__N_130reflection_pad1d_backward_flatIdEEvPT_PKS3_llll
                                        ; -- End function
	.section	.AMDGPU.csdata,"",@progbits
; Kernel info:
; codeLenInByte = 2040
; NumSgprs: 36
; NumVgprs: 19
; NumAgprs: 0
; TotalNumVgprs: 19
; ScratchSize: 0
; MemoryBound: 0
; FloatMode: 240
; IeeeMode: 1
; LDSByteSize: 0 bytes/workgroup (compile time only)
; SGPRBlocks: 4
; VGPRBlocks: 2
; NumSGPRsForWavesPerEU: 36
; NumVGPRsForWavesPerEU: 19
; AccumOffset: 20
; Occupancy: 8
; WaveLimiterHint : 0
; COMPUTE_PGM_RSRC2:SCRATCH_EN: 0
; COMPUTE_PGM_RSRC2:USER_SGPR: 6
; COMPUTE_PGM_RSRC2:TRAP_HANDLER: 0
; COMPUTE_PGM_RSRC2:TGID_X_EN: 1
; COMPUTE_PGM_RSRC2:TGID_Y_EN: 0
; COMPUTE_PGM_RSRC2:TGID_Z_EN: 0
; COMPUTE_PGM_RSRC2:TIDIG_COMP_CNT: 0
; COMPUTE_PGM_RSRC3_GFX90A:ACCUM_OFFSET: 4
; COMPUTE_PGM_RSRC3_GFX90A:TG_SPLIT: 0
	.section	.text._ZN2at6native12_GLOBAL__N_136reflection_pad1d_backward_out_kernelIfEEvPT_PKS3_lll,"axG",@progbits,_ZN2at6native12_GLOBAL__N_136reflection_pad1d_backward_out_kernelIfEEvPT_PKS3_lll,comdat
	.globl	_ZN2at6native12_GLOBAL__N_136reflection_pad1d_backward_out_kernelIfEEvPT_PKS3_lll ; -- Begin function _ZN2at6native12_GLOBAL__N_136reflection_pad1d_backward_out_kernelIfEEvPT_PKS3_lll
	.p2align	8
	.type	_ZN2at6native12_GLOBAL__N_136reflection_pad1d_backward_out_kernelIfEEvPT_PKS3_lll,@function
_ZN2at6native12_GLOBAL__N_136reflection_pad1d_backward_out_kernelIfEEvPT_PKS3_lll: ; @_ZN2at6native12_GLOBAL__N_136reflection_pad1d_backward_out_kernelIfEEvPT_PKS3_lll
; %bb.0:
	s_load_dword s9, s[4:5], 0x34
	s_load_dwordx2 s[0:1], s[4:5], 0x20
	s_load_dwordx8 s[12:19], s[4:5], 0x0
	s_add_u32 s2, s4, 40
	s_addc_u32 s3, s5, 0
	s_waitcnt lgkmcnt(0)
	s_and_b32 s4, s9, 0xffff
	v_mov_b32_e32 v1, 0
	v_mov_b32_e32 v2, s6
	v_mad_u64_u32 v[0:1], s[4:5], s4, v2, v[0:1]
	s_add_u32 s4, s18, s16
	s_addc_u32 s5, s19, s17
	s_add_u32 s0, s4, s0
	s_addc_u32 s1, s5, s1
	v_cmp_gt_i64_e32 vcc, s[0:1], v[0:1]
	s_and_saveexec_b64 s[10:11], vcc
	s_cbranch_execz .LBB47_2
; %bb.1:
	s_load_dword s6, s[2:3], 0x4
	s_sub_u32 s2, 0, s18
	s_subb_u32 s3, 0, s19
	v_lshlrev_b64 v[2:3], 2, v[0:1]
	s_waitcnt lgkmcnt(0)
	s_mul_i32 s6, s6, s8
	s_add_i32 s8, s6, s7
	s_mul_i32 s7, s8, s17
	s_mul_hi_u32 s9, s8, s16
	s_add_i32 s7, s9, s7
	s_mul_i32 s1, s1, s8
	s_mul_hi_u32 s9, s0, s8
	s_mul_i32 s6, s8, s16
	s_add_i32 s1, s9, s1
	s_mul_i32 s0, s0, s8
	v_cmp_gt_i64_e64 s[8:9], s[2:3], 0
	s_and_b64 s[8:9], s[8:9], exec
	s_cselect_b32 s8, s3, 0
	s_cselect_b32 s9, s2, 0
	v_cmp_gt_i64_e64 s[2:3], s[18:19], 0
	s_and_b64 s[2:3], s[2:3], exec
	s_cselect_b32 s3, s19, 0
	s_cselect_b32 s2, s18, 0
	s_not_b64 s[2:3], s[2:3]
	s_add_u32 s10, s4, s18
	s_addc_u32 s11, s5, s19
	s_add_u32 s2, s10, s2
	s_addc_u32 s3, s11, s3
	s_add_u32 s9, s2, s9
	s_addc_u32 s8, s3, s8
	s_lshl_b64 s[2:3], s[6:7], 2
	s_lshl_b64 s[0:1], s[0:1], 2
	s_add_u32 s0, s14, s0
	s_addc_u32 s1, s15, s1
	v_mov_b32_e32 v4, s1
	v_add_co_u32_e32 v2, vcc, s0, v2
	v_addc_co_u32_e32 v3, vcc, v4, v3, vcc
	global_load_dword v4, v[2:3], off
	v_mov_b32_e32 v2, s19
	v_subrev_co_u32_e32 v3, vcc, s18, v0
	v_subb_co_u32_e32 v2, vcc, v1, v2, vcc
	v_ashrrev_i32_e32 v5, 31, v2
	v_xor_b32_e32 v6, v2, v5
	v_xor_b32_e32 v2, v3, v5
	v_sub_co_u32_e32 v2, vcc, v2, v5
	v_subb_co_u32_e32 v3, vcc, v6, v5, vcc
	v_mov_b32_e32 v5, s5
	v_subrev_co_u32_e32 v6, vcc, s4, v0
	v_subb_co_u32_e32 v5, vcc, v1, v5, vcc
	v_add_co_u32_e32 v6, vcc, 1, v6
	v_addc_co_u32_e32 v5, vcc, 0, v5, vcc
	v_ashrrev_i32_e32 v7, 31, v5
	v_xor_b32_e32 v6, v6, v7
	v_xor_b32_e32 v5, v5, v7
	v_sub_co_u32_e32 v6, vcc, v6, v7
	v_subb_co_u32_e32 v5, vcc, v5, v7, vcc
	v_add_co_u32_e32 v0, vcc, v0, v6
	v_addc_co_u32_e32 v1, vcc, v1, v5, vcc
	v_mov_b32_e32 v5, s8
	v_sub_co_u32_e32 v0, vcc, s9, v0
	v_subb_co_u32_e32 v1, vcc, v5, v1, vcc
	v_lshlrev_b64 v[0:1], 2, v[0:1]
	v_mov_b32_e32 v5, s13
	v_add_co_u32_e32 v6, vcc, s12, v0
	v_addc_co_u32_e32 v5, vcc, v5, v1, vcc
	v_lshlrev_b64 v[0:1], 2, v[2:3]
	v_add_co_u32_e32 v0, vcc, v6, v0
	v_addc_co_u32_e32 v1, vcc, v5, v1, vcc
	v_mov_b32_e32 v2, s3
	v_add_co_u32_e32 v0, vcc, s2, v0
	v_addc_co_u32_e32 v1, vcc, v1, v2, vcc
	s_waitcnt vmcnt(0)
	global_atomic_add_f32 v[0:1], v4, off
.LBB47_2:
	s_endpgm
	.section	.rodata,"a",@progbits
	.p2align	6, 0x0
	.amdhsa_kernel _ZN2at6native12_GLOBAL__N_136reflection_pad1d_backward_out_kernelIfEEvPT_PKS3_lll
		.amdhsa_group_segment_fixed_size 0
		.amdhsa_private_segment_fixed_size 0
		.amdhsa_kernarg_size 296
		.amdhsa_user_sgpr_count 6
		.amdhsa_user_sgpr_private_segment_buffer 1
		.amdhsa_user_sgpr_dispatch_ptr 0
		.amdhsa_user_sgpr_queue_ptr 0
		.amdhsa_user_sgpr_kernarg_segment_ptr 1
		.amdhsa_user_sgpr_dispatch_id 0
		.amdhsa_user_sgpr_flat_scratch_init 0
		.amdhsa_user_sgpr_kernarg_preload_length 0
		.amdhsa_user_sgpr_kernarg_preload_offset 0
		.amdhsa_user_sgpr_private_segment_size 0
		.amdhsa_uses_dynamic_stack 0
		.amdhsa_system_sgpr_private_segment_wavefront_offset 0
		.amdhsa_system_sgpr_workgroup_id_x 1
		.amdhsa_system_sgpr_workgroup_id_y 1
		.amdhsa_system_sgpr_workgroup_id_z 1
		.amdhsa_system_sgpr_workgroup_info 0
		.amdhsa_system_vgpr_workitem_id 0
		.amdhsa_next_free_vgpr 8
		.amdhsa_next_free_sgpr 20
		.amdhsa_accum_offset 8
		.amdhsa_reserve_vcc 1
		.amdhsa_reserve_flat_scratch 0
		.amdhsa_float_round_mode_32 0
		.amdhsa_float_round_mode_16_64 0
		.amdhsa_float_denorm_mode_32 3
		.amdhsa_float_denorm_mode_16_64 3
		.amdhsa_dx10_clamp 1
		.amdhsa_ieee_mode 1
		.amdhsa_fp16_overflow 0
		.amdhsa_tg_split 0
		.amdhsa_exception_fp_ieee_invalid_op 0
		.amdhsa_exception_fp_denorm_src 0
		.amdhsa_exception_fp_ieee_div_zero 0
		.amdhsa_exception_fp_ieee_overflow 0
		.amdhsa_exception_fp_ieee_underflow 0
		.amdhsa_exception_fp_ieee_inexact 0
		.amdhsa_exception_int_div_zero 0
	.end_amdhsa_kernel
	.section	.text._ZN2at6native12_GLOBAL__N_136reflection_pad1d_backward_out_kernelIfEEvPT_PKS3_lll,"axG",@progbits,_ZN2at6native12_GLOBAL__N_136reflection_pad1d_backward_out_kernelIfEEvPT_PKS3_lll,comdat
.Lfunc_end47:
	.size	_ZN2at6native12_GLOBAL__N_136reflection_pad1d_backward_out_kernelIfEEvPT_PKS3_lll, .Lfunc_end47-_ZN2at6native12_GLOBAL__N_136reflection_pad1d_backward_out_kernelIfEEvPT_PKS3_lll
                                        ; -- End function
	.section	.AMDGPU.csdata,"",@progbits
; Kernel info:
; codeLenInByte = 416
; NumSgprs: 24
; NumVgprs: 8
; NumAgprs: 0
; TotalNumVgprs: 8
; ScratchSize: 0
; MemoryBound: 0
; FloatMode: 240
; IeeeMode: 1
; LDSByteSize: 0 bytes/workgroup (compile time only)
; SGPRBlocks: 2
; VGPRBlocks: 0
; NumSGPRsForWavesPerEU: 24
; NumVGPRsForWavesPerEU: 8
; AccumOffset: 8
; Occupancy: 8
; WaveLimiterHint : 0
; COMPUTE_PGM_RSRC2:SCRATCH_EN: 0
; COMPUTE_PGM_RSRC2:USER_SGPR: 6
; COMPUTE_PGM_RSRC2:TRAP_HANDLER: 0
; COMPUTE_PGM_RSRC2:TGID_X_EN: 1
; COMPUTE_PGM_RSRC2:TGID_Y_EN: 1
; COMPUTE_PGM_RSRC2:TGID_Z_EN: 1
; COMPUTE_PGM_RSRC2:TIDIG_COMP_CNT: 0
; COMPUTE_PGM_RSRC3_GFX90A:ACCUM_OFFSET: 1
; COMPUTE_PGM_RSRC3_GFX90A:TG_SPLIT: 0
	.section	.text._ZN2at6native12_GLOBAL__N_130reflection_pad1d_backward_flatIfEEvPT_PKS3_llll,"axG",@progbits,_ZN2at6native12_GLOBAL__N_130reflection_pad1d_backward_flatIfEEvPT_PKS3_llll,comdat
	.globl	_ZN2at6native12_GLOBAL__N_130reflection_pad1d_backward_flatIfEEvPT_PKS3_llll ; -- Begin function _ZN2at6native12_GLOBAL__N_130reflection_pad1d_backward_flatIfEEvPT_PKS3_llll
	.p2align	8
	.type	_ZN2at6native12_GLOBAL__N_130reflection_pad1d_backward_flatIfEEvPT_PKS3_llll,@function
_ZN2at6native12_GLOBAL__N_130reflection_pad1d_backward_flatIfEEvPT_PKS3_llll: ; @_ZN2at6native12_GLOBAL__N_130reflection_pad1d_backward_flatIfEEvPT_PKS3_llll
; %bb.0:
	s_load_dword s2, s[4:5], 0x3c
	s_load_dwordx8 s[8:15], s[4:5], 0x10
	s_add_u32 s0, s4, 48
	v_mov_b32_e32 v2, 0
	s_addc_u32 s1, s5, 0
	s_waitcnt lgkmcnt(0)
	s_and_b32 s2, s2, 0xffff
	s_mul_i32 s3, s14, s13
	s_mul_hi_u32 s7, s14, s12
	v_mov_b32_e32 v1, v2
	s_add_i32 s3, s7, s3
	s_mul_i32 s7, s15, s12
	v_mov_b32_e32 v3, s6
	s_add_i32 s15, s3, s7
	s_mul_i32 s14, s14, s12
	v_mad_u64_u32 v[0:1], s[6:7], s2, v3, v[0:1]
	v_cmp_gt_i64_e32 vcc, s[14:15], v[0:1]
	s_and_saveexec_b64 s[6:7], vcc
	s_cbranch_execz .LBB48_13
; %bb.1:
	v_cvt_f32_u32_e32 v3, s12
	s_load_dword s3, s[0:1], 0x0
	s_load_dwordx4 s[16:19], s[4:5], 0x0
	s_lshl_b64 s[0:1], s[8:9], 1
	s_add_u32 s4, s0, -2
	v_rcp_iflag_f32_e32 v3, v3
	s_addc_u32 s5, s1, -1
	s_sub_u32 s28, 0, s12
	s_subb_u32 s29, 0, s13
	v_mul_f32_e32 v3, 0x4f7ffffe, v3
	v_cvt_u32_f32_e32 v12, v3
	v_lshlrev_b64 v[4:5], 2, v[0:1]
	s_waitcnt lgkmcnt(0)
	s_mul_hi_u32 s7, s2, s3
	s_mul_i32 s6, s2, s3
	s_sub_u32 s30, 0, s10
	v_mov_b32_e32 v6, s19
	v_add_co_u32_e32 v4, vcc, s18, v4
	s_mov_b64 s[20:21], 0
	v_cmp_gt_i64_e64 s[22:23], s[4:5], 0
	s_subb_u32 s31, 0, s11
	v_addc_co_u32_e32 v5, vcc, v6, v5, vcc
	s_lshl_b64 s[10:11], s[6:7], 2
	s_ashr_i32 s18, s13, 31
	s_branch .LBB48_4
.LBB48_2:                               ;   in Loop: Header=BB48_4 Depth=1
	s_or_b64 exec, exec, s[0:1]
	v_ashrrev_i32_e32 v3, 31, v11
	v_and_b32_e32 v9, s5, v3
	v_and_b32_e32 v3, s4, v3
	v_add_co_u32_e32 v8, vcc, v3, v10
	v_addc_co_u32_e32 v9, vcc, v9, v11, vcc
	v_mov_b32_e32 v3, s5
	v_sub_co_u32_e32 v10, vcc, s4, v8
	v_subb_co_u32_e32 v3, vcc, v3, v9, vcc
	v_cmp_gt_i64_e32 vcc, s[8:9], v[8:9]
	v_cndmask_b32_e32 v9, v3, v9, vcc
	v_cndmask_b32_e32 v8, v10, v8, vcc
.LBB48_3:                               ;   in Loop: Header=BB48_4 Depth=1
	global_load_dword v3, v[4:5], off
	v_mul_lo_u32 v10, v7, s8
	v_mul_lo_u32 v11, v6, s9
	v_mad_u64_u32 v[6:7], s[0:1], v6, s8, 0
	v_add3_u32 v7, v7, v11, v10
	v_lshlrev_b64 v[6:7], 2, v[6:7]
	v_mov_b32_e32 v10, s17
	v_add_co_u32_e32 v11, vcc, s16, v6
	v_addc_co_u32_e32 v10, vcc, v10, v7, vcc
	v_lshlrev_b64 v[6:7], 2, v[8:9]
	v_add_co_u32_e32 v6, vcc, v11, v6
	v_addc_co_u32_e32 v7, vcc, v10, v7, vcc
	v_add_co_u32_e32 v0, vcc, s6, v0
	s_waitcnt vmcnt(0)
	global_atomic_add_f32 v[6:7], v3, off
	v_mov_b32_e32 v3, s7
	v_addc_co_u32_e32 v1, vcc, v1, v3, vcc
	v_cmp_le_i64_e32 vcc, s[14:15], v[0:1]
	v_mov_b32_e32 v3, s11
	s_or_b64 s[20:21], vcc, s[20:21]
	v_add_co_u32_e32 v4, vcc, s10, v4
	v_addc_co_u32_e32 v5, vcc, v5, v3, vcc
	s_andn2_b64 exec, exec, s[20:21]
	s_cbranch_execz .LBB48_13
.LBB48_4:                               ; =>This Inner Loop Header: Depth=1
	v_or_b32_e32 v3, s13, v1
	v_cmp_ne_u64_e32 vcc, 0, v[2:3]
                                        ; implicit-def: $vgpr6_vgpr7
	s_and_saveexec_b64 s[0:1], vcc
	s_xor_b64 s[2:3], exec, s[0:1]
	s_cbranch_execnz .LBB48_7
; %bb.5:                                ;   in Loop: Header=BB48_4 Depth=1
	s_andn2_saveexec_b64 s[0:1], s[2:3]
	s_cbranch_execnz .LBB48_8
.LBB48_6:                               ;   in Loop: Header=BB48_4 Depth=1
	s_or_b64 exec, exec, s[0:1]
	s_andn2_b64 vcc, exec, s[22:23]
	v_pk_mov_b32 v[8:9], 0, 0
	s_cbranch_vccnz .LBB48_3
	s_branch .LBB48_9
.LBB48_7:                               ;   in Loop: Header=BB48_4 Depth=1
	s_add_u32 s0, s12, s18
	s_mov_b32 s19, s18
	s_addc_u32 s1, s13, s18
	s_xor_b64 s[24:25], s[0:1], s[18:19]
	v_cvt_f32_u32_e32 v3, s24
	v_cvt_f32_u32_e32 v6, s25
	s_sub_u32 s0, 0, s24
	s_subb_u32 s1, 0, s25
	v_mac_f32_e32 v3, 0x4f800000, v6
	v_rcp_f32_e32 v3, v3
	v_mul_f32_e32 v3, 0x5f7ffffc, v3
	v_mul_f32_e32 v6, 0x2f800000, v3
	v_trunc_f32_e32 v6, v6
	v_mac_f32_e32 v3, 0xcf800000, v6
	v_cvt_u32_f32_e32 v6, v6
	v_cvt_u32_f32_e32 v3, v3
	v_mul_lo_u32 v7, s0, v6
	v_mul_hi_u32 v9, s0, v3
	v_mul_lo_u32 v8, s1, v3
	v_add_u32_e32 v7, v9, v7
	v_mul_lo_u32 v10, s0, v3
	v_add_u32_e32 v7, v7, v8
	v_mul_lo_u32 v9, v3, v7
	v_mul_hi_u32 v11, v3, v10
	v_mul_hi_u32 v8, v3, v7
	v_add_co_u32_e32 v9, vcc, v11, v9
	v_addc_co_u32_e32 v8, vcc, 0, v8, vcc
	v_mul_hi_u32 v13, v6, v10
	v_mul_lo_u32 v10, v6, v10
	v_add_co_u32_e32 v9, vcc, v9, v10
	v_mul_hi_u32 v11, v6, v7
	v_addc_co_u32_e32 v8, vcc, v8, v13, vcc
	v_addc_co_u32_e32 v9, vcc, 0, v11, vcc
	v_mul_lo_u32 v7, v6, v7
	v_add_co_u32_e32 v7, vcc, v8, v7
	v_addc_co_u32_e32 v8, vcc, 0, v9, vcc
	v_add_co_u32_e32 v3, vcc, v3, v7
	v_addc_co_u32_e32 v6, vcc, v6, v8, vcc
	v_mul_lo_u32 v7, s0, v6
	v_mul_hi_u32 v8, s0, v3
	v_add_u32_e32 v7, v8, v7
	v_mul_lo_u32 v8, s1, v3
	v_add_u32_e32 v7, v7, v8
	v_mul_lo_u32 v9, s0, v3
	v_mul_hi_u32 v10, v6, v9
	v_mul_lo_u32 v11, v6, v9
	v_mul_lo_u32 v14, v3, v7
	v_mul_hi_u32 v9, v3, v9
	v_mul_hi_u32 v13, v3, v7
	v_add_co_u32_e32 v9, vcc, v9, v14
	v_addc_co_u32_e32 v13, vcc, 0, v13, vcc
	v_add_co_u32_e32 v9, vcc, v9, v11
	v_mul_hi_u32 v8, v6, v7
	v_addc_co_u32_e32 v9, vcc, v13, v10, vcc
	v_addc_co_u32_e32 v8, vcc, 0, v8, vcc
	v_mul_lo_u32 v7, v6, v7
	v_add_co_u32_e32 v7, vcc, v9, v7
	v_addc_co_u32_e32 v8, vcc, 0, v8, vcc
	v_add_co_u32_e32 v3, vcc, v3, v7
	v_addc_co_u32_e32 v8, vcc, v6, v8, vcc
	v_ashrrev_i32_e32 v10, 31, v1
	v_add_co_u32_e32 v6, vcc, v0, v10
	v_addc_co_u32_e32 v7, vcc, v1, v10, vcc
	v_xor_b32_e32 v13, v6, v10
	v_xor_b32_e32 v11, v7, v10
	v_mad_u64_u32 v[6:7], s[0:1], v13, v8, 0
	v_mul_hi_u32 v9, v13, v3
	v_add_co_u32_e32 v14, vcc, v9, v6
	v_addc_co_u32_e32 v15, vcc, 0, v7, vcc
	v_mad_u64_u32 v[6:7], s[0:1], v11, v8, 0
	v_mad_u64_u32 v[8:9], s[0:1], v11, v3, 0
	v_add_co_u32_e32 v3, vcc, v14, v8
	v_addc_co_u32_e32 v3, vcc, v15, v9, vcc
	v_addc_co_u32_e32 v7, vcc, 0, v7, vcc
	v_add_co_u32_e32 v3, vcc, v3, v6
	v_addc_co_u32_e32 v8, vcc, 0, v7, vcc
	v_mul_lo_u32 v9, s25, v3
	v_mul_lo_u32 v14, s24, v8
	v_mad_u64_u32 v[6:7], s[0:1], s24, v3, 0
	v_add3_u32 v7, v7, v14, v9
	v_sub_u32_e32 v9, v11, v7
	v_mov_b32_e32 v14, s25
	v_sub_co_u32_e32 v6, vcc, v13, v6
	v_subb_co_u32_e64 v9, s[0:1], v9, v14, vcc
	v_subrev_co_u32_e64 v13, s[0:1], s24, v6
	v_subbrev_co_u32_e64 v9, s[0:1], 0, v9, s[0:1]
	v_cmp_le_u32_e64 s[0:1], s25, v9
	v_cndmask_b32_e64 v14, 0, -1, s[0:1]
	v_cmp_le_u32_e64 s[0:1], s24, v13
	v_cndmask_b32_e64 v13, 0, -1, s[0:1]
	v_cmp_eq_u32_e64 s[0:1], s25, v9
	v_cndmask_b32_e64 v9, v14, v13, s[0:1]
	v_add_co_u32_e64 v13, s[0:1], 2, v3
	v_subb_co_u32_e32 v7, vcc, v11, v7, vcc
	v_addc_co_u32_e64 v14, s[0:1], 0, v8, s[0:1]
	v_cmp_le_u32_e32 vcc, s25, v7
	v_add_co_u32_e64 v15, s[0:1], 1, v3
	v_cndmask_b32_e64 v11, 0, -1, vcc
	v_cmp_le_u32_e32 vcc, s24, v6
	v_addc_co_u32_e64 v16, s[0:1], 0, v8, s[0:1]
	v_cndmask_b32_e64 v6, 0, -1, vcc
	v_cmp_eq_u32_e32 vcc, s25, v7
	v_cmp_ne_u32_e64 s[0:1], 0, v9
	v_cndmask_b32_e32 v6, v11, v6, vcc
	v_cmp_ne_u32_e32 vcc, 0, v6
	v_cndmask_b32_e64 v7, v15, v13, s[0:1]
	v_cndmask_b32_e64 v9, v16, v14, s[0:1]
	v_cndmask_b32_e32 v3, v3, v7, vcc
	v_xor_b32_e32 v7, s18, v10
	v_cndmask_b32_e32 v6, v8, v9, vcc
	v_xor_b32_e32 v3, v3, v7
	v_xor_b32_e32 v8, v6, v7
	v_sub_co_u32_e32 v6, vcc, v3, v7
	v_subb_co_u32_e32 v7, vcc, v8, v7, vcc
	s_andn2_saveexec_b64 s[0:1], s[2:3]
	s_cbranch_execz .LBB48_6
.LBB48_8:                               ;   in Loop: Header=BB48_4 Depth=1
	s_sub_i32 s2, 0, s12
	v_mul_lo_u32 v3, s2, v12
	v_mul_hi_u32 v3, v12, v3
	v_add_u32_e32 v3, v12, v3
	v_mul_hi_u32 v3, v0, v3
	v_mul_lo_u32 v6, v3, s12
	v_sub_u32_e32 v6, v0, v6
	v_subrev_u32_e32 v7, s12, v6
	v_cmp_le_u32_e32 vcc, s12, v6
	v_cndmask_b32_e32 v6, v6, v7, vcc
	v_add_u32_e32 v7, 1, v3
	v_cndmask_b32_e32 v3, v3, v7, vcc
	v_add_u32_e32 v7, 1, v3
	v_cmp_le_u32_e32 vcc, s12, v6
	v_cndmask_b32_e32 v6, v3, v7, vcc
	v_mov_b32_e32 v7, v2
	s_or_b64 exec, exec, s[0:1]
	s_andn2_b64 vcc, exec, s[22:23]
	v_pk_mov_b32 v[8:9], 0, 0
	s_cbranch_vccnz .LBB48_3
.LBB48_9:                               ;   in Loop: Header=BB48_4 Depth=1
	v_mov_b32_e32 v3, s31
	v_add_co_u32_e32 v8, vcc, s30, v0
	v_addc_co_u32_e32 v9, vcc, v3, v1, vcc
	v_mul_lo_u32 v3, s28, v7
	v_mul_lo_u32 v10, s29, v6
	v_mad_u64_u32 v[8:9], s[0:1], s28, v6, v[8:9]
	v_add3_u32 v9, v10, v9, v3
	v_or_b32_e32 v3, s5, v9
	v_cmp_ne_u64_e32 vcc, 0, v[2:3]
                                        ; implicit-def: $vgpr10_vgpr11
	s_and_saveexec_b64 s[0:1], vcc
	s_xor_b64 s[24:25], exec, s[0:1]
	s_cbranch_execz .LBB48_11
; %bb.10:                               ;   in Loop: Header=BB48_4 Depth=1
	s_ashr_i32 s0, s5, 31
	s_add_u32 s2, s4, s0
	s_mov_b32 s1, s0
	s_addc_u32 s3, s5, s0
	s_xor_b64 s[26:27], s[2:3], s[0:1]
	v_cvt_f32_u32_e32 v3, s26
	v_cvt_f32_u32_e32 v10, s27
	s_sub_u32 s0, 0, s26
	s_subb_u32 s1, 0, s27
	v_mac_f32_e32 v3, 0x4f800000, v10
	v_rcp_f32_e32 v3, v3
	v_mul_f32_e32 v3, 0x5f7ffffc, v3
	v_mul_f32_e32 v10, 0x2f800000, v3
	v_trunc_f32_e32 v10, v10
	v_mac_f32_e32 v3, 0xcf800000, v10
	v_cvt_u32_f32_e32 v10, v10
	v_cvt_u32_f32_e32 v3, v3
	v_mul_lo_u32 v11, s0, v10
	v_mul_hi_u32 v14, s0, v3
	v_mul_lo_u32 v13, s1, v3
	v_add_u32_e32 v11, v14, v11
	v_mul_lo_u32 v15, s0, v3
	v_add_u32_e32 v11, v11, v13
	v_mul_lo_u32 v14, v3, v11
	v_mul_hi_u32 v16, v3, v15
	v_mul_hi_u32 v13, v3, v11
	v_add_co_u32_e32 v14, vcc, v16, v14
	v_addc_co_u32_e32 v13, vcc, 0, v13, vcc
	v_mul_hi_u32 v17, v10, v15
	v_mul_lo_u32 v15, v10, v15
	v_add_co_u32_e32 v14, vcc, v14, v15
	v_mul_hi_u32 v16, v10, v11
	v_addc_co_u32_e32 v13, vcc, v13, v17, vcc
	v_addc_co_u32_e32 v14, vcc, 0, v16, vcc
	v_mul_lo_u32 v11, v10, v11
	v_add_co_u32_e32 v11, vcc, v13, v11
	v_addc_co_u32_e32 v13, vcc, 0, v14, vcc
	v_add_co_u32_e32 v3, vcc, v3, v11
	v_addc_co_u32_e32 v10, vcc, v10, v13, vcc
	v_mul_lo_u32 v11, s0, v10
	v_mul_hi_u32 v13, s0, v3
	v_add_u32_e32 v11, v13, v11
	v_mul_lo_u32 v13, s1, v3
	v_add_u32_e32 v11, v11, v13
	v_mul_lo_u32 v14, s0, v3
	v_mul_hi_u32 v15, v10, v14
	v_mul_lo_u32 v16, v10, v14
	v_mul_lo_u32 v18, v3, v11
	v_mul_hi_u32 v14, v3, v14
	v_mul_hi_u32 v17, v3, v11
	v_add_co_u32_e32 v14, vcc, v14, v18
	v_addc_co_u32_e32 v17, vcc, 0, v17, vcc
	v_add_co_u32_e32 v14, vcc, v14, v16
	v_mul_hi_u32 v13, v10, v11
	v_addc_co_u32_e32 v14, vcc, v17, v15, vcc
	v_addc_co_u32_e32 v13, vcc, 0, v13, vcc
	v_mul_lo_u32 v11, v10, v11
	v_add_co_u32_e32 v11, vcc, v14, v11
	v_addc_co_u32_e32 v13, vcc, 0, v13, vcc
	v_add_co_u32_e32 v3, vcc, v3, v11
	v_addc_co_u32_e32 v10, vcc, v10, v13, vcc
	v_ashrrev_i32_e32 v13, 31, v9
	v_add_co_u32_e32 v8, vcc, v8, v13
	v_addc_co_u32_e32 v9, vcc, v9, v13, vcc
	v_xor_b32_e32 v15, v8, v13
	v_xor_b32_e32 v14, v9, v13
	v_mad_u64_u32 v[8:9], s[0:1], v15, v10, 0
	v_mul_hi_u32 v11, v15, v3
	v_add_co_u32_e32 v16, vcc, v11, v8
	v_addc_co_u32_e32 v17, vcc, 0, v9, vcc
	v_mad_u64_u32 v[8:9], s[0:1], v14, v10, 0
	v_mad_u64_u32 v[10:11], s[0:1], v14, v3, 0
	v_add_co_u32_e32 v3, vcc, v16, v10
	v_addc_co_u32_e32 v3, vcc, v17, v11, vcc
	v_addc_co_u32_e32 v9, vcc, 0, v9, vcc
	v_add_co_u32_e32 v3, vcc, v3, v8
	v_addc_co_u32_e32 v8, vcc, 0, v9, vcc
	v_mul_lo_u32 v10, s27, v3
	v_mul_lo_u32 v11, s26, v8
	v_mad_u64_u32 v[8:9], s[0:1], s26, v3, 0
	v_add3_u32 v3, v9, v11, v10
	v_sub_u32_e32 v9, v14, v3
	v_mov_b32_e32 v10, s27
	v_sub_co_u32_e32 v8, vcc, v15, v8
	v_subb_co_u32_e64 v9, s[0:1], v9, v10, vcc
	v_subrev_co_u32_e64 v11, s[0:1], s26, v8
	v_subbrev_co_u32_e64 v15, s[2:3], 0, v9, s[0:1]
	v_cmp_le_u32_e64 s[2:3], s27, v15
	v_cndmask_b32_e64 v16, 0, -1, s[2:3]
	v_cmp_le_u32_e64 s[2:3], s26, v11
	v_subb_co_u32_e64 v9, s[0:1], v9, v10, s[0:1]
	v_cndmask_b32_e64 v17, 0, -1, s[2:3]
	v_cmp_eq_u32_e64 s[2:3], s27, v15
	v_subrev_co_u32_e64 v10, s[0:1], s26, v11
	v_subb_co_u32_e32 v3, vcc, v14, v3, vcc
	v_cndmask_b32_e64 v16, v16, v17, s[2:3]
	v_subbrev_co_u32_e64 v9, s[0:1], 0, v9, s[0:1]
	v_cmp_le_u32_e32 vcc, s27, v3
	v_cmp_ne_u32_e64 s[0:1], 0, v16
	v_cndmask_b32_e64 v14, 0, -1, vcc
	v_cmp_le_u32_e32 vcc, s26, v8
	v_cndmask_b32_e64 v9, v15, v9, s[0:1]
	v_cndmask_b32_e64 v15, 0, -1, vcc
	v_cmp_eq_u32_e32 vcc, s27, v3
	v_cndmask_b32_e32 v14, v14, v15, vcc
	v_cmp_ne_u32_e32 vcc, 0, v14
	v_cndmask_b32_e32 v3, v3, v9, vcc
	v_cndmask_b32_e64 v9, v11, v10, s[0:1]
	v_cndmask_b32_e32 v8, v8, v9, vcc
	v_xor_b32_e32 v8, v8, v13
	v_xor_b32_e32 v3, v3, v13
	v_sub_co_u32_e32 v10, vcc, v8, v13
	v_subb_co_u32_e32 v11, vcc, v3, v13, vcc
                                        ; implicit-def: $vgpr8_vgpr9
.LBB48_11:                              ;   in Loop: Header=BB48_4 Depth=1
	s_andn2_saveexec_b64 s[0:1], s[24:25]
	s_cbranch_execz .LBB48_2
; %bb.12:                               ;   in Loop: Header=BB48_4 Depth=1
	v_cvt_f32_u32_e32 v3, s4
	s_sub_i32 s2, 0, s4
	v_mov_b32_e32 v11, v2
	v_rcp_iflag_f32_e32 v3, v3
	v_mul_f32_e32 v3, 0x4f7ffffe, v3
	v_cvt_u32_f32_e32 v3, v3
	v_mul_lo_u32 v9, s2, v3
	v_mul_hi_u32 v9, v3, v9
	v_add_u32_e32 v3, v3, v9
	v_mul_hi_u32 v3, v8, v3
	v_mul_lo_u32 v3, v3, s4
	v_sub_u32_e32 v3, v8, v3
	v_subrev_u32_e32 v8, s4, v3
	v_cmp_le_u32_e32 vcc, s4, v3
	v_cndmask_b32_e32 v3, v3, v8, vcc
	v_subrev_u32_e32 v8, s4, v3
	v_cmp_le_u32_e32 vcc, s4, v3
	v_cndmask_b32_e32 v10, v3, v8, vcc
	s_branch .LBB48_2
.LBB48_13:
	s_endpgm
	.section	.rodata,"a",@progbits
	.p2align	6, 0x0
	.amdhsa_kernel _ZN2at6native12_GLOBAL__N_130reflection_pad1d_backward_flatIfEEvPT_PKS3_llll
		.amdhsa_group_segment_fixed_size 0
		.amdhsa_private_segment_fixed_size 0
		.amdhsa_kernarg_size 304
		.amdhsa_user_sgpr_count 6
		.amdhsa_user_sgpr_private_segment_buffer 1
		.amdhsa_user_sgpr_dispatch_ptr 0
		.amdhsa_user_sgpr_queue_ptr 0
		.amdhsa_user_sgpr_kernarg_segment_ptr 1
		.amdhsa_user_sgpr_dispatch_id 0
		.amdhsa_user_sgpr_flat_scratch_init 0
		.amdhsa_user_sgpr_kernarg_preload_length 0
		.amdhsa_user_sgpr_kernarg_preload_offset 0
		.amdhsa_user_sgpr_private_segment_size 0
		.amdhsa_uses_dynamic_stack 0
		.amdhsa_system_sgpr_private_segment_wavefront_offset 0
		.amdhsa_system_sgpr_workgroup_id_x 1
		.amdhsa_system_sgpr_workgroup_id_y 0
		.amdhsa_system_sgpr_workgroup_id_z 0
		.amdhsa_system_sgpr_workgroup_info 0
		.amdhsa_system_vgpr_workitem_id 0
		.amdhsa_next_free_vgpr 19
		.amdhsa_next_free_sgpr 32
		.amdhsa_accum_offset 20
		.amdhsa_reserve_vcc 1
		.amdhsa_reserve_flat_scratch 0
		.amdhsa_float_round_mode_32 0
		.amdhsa_float_round_mode_16_64 0
		.amdhsa_float_denorm_mode_32 3
		.amdhsa_float_denorm_mode_16_64 3
		.amdhsa_dx10_clamp 1
		.amdhsa_ieee_mode 1
		.amdhsa_fp16_overflow 0
		.amdhsa_tg_split 0
		.amdhsa_exception_fp_ieee_invalid_op 0
		.amdhsa_exception_fp_denorm_src 0
		.amdhsa_exception_fp_ieee_div_zero 0
		.amdhsa_exception_fp_ieee_overflow 0
		.amdhsa_exception_fp_ieee_underflow 0
		.amdhsa_exception_fp_ieee_inexact 0
		.amdhsa_exception_int_div_zero 0
	.end_amdhsa_kernel
	.section	.text._ZN2at6native12_GLOBAL__N_130reflection_pad1d_backward_flatIfEEvPT_PKS3_llll,"axG",@progbits,_ZN2at6native12_GLOBAL__N_130reflection_pad1d_backward_flatIfEEvPT_PKS3_llll,comdat
.Lfunc_end48:
	.size	_ZN2at6native12_GLOBAL__N_130reflection_pad1d_backward_flatIfEEvPT_PKS3_llll, .Lfunc_end48-_ZN2at6native12_GLOBAL__N_130reflection_pad1d_backward_flatIfEEvPT_PKS3_llll
                                        ; -- End function
	.section	.AMDGPU.csdata,"",@progbits
; Kernel info:
; codeLenInByte = 2040
; NumSgprs: 36
; NumVgprs: 19
; NumAgprs: 0
; TotalNumVgprs: 19
; ScratchSize: 0
; MemoryBound: 0
; FloatMode: 240
; IeeeMode: 1
; LDSByteSize: 0 bytes/workgroup (compile time only)
; SGPRBlocks: 4
; VGPRBlocks: 2
; NumSGPRsForWavesPerEU: 36
; NumVGPRsForWavesPerEU: 19
; AccumOffset: 20
; Occupancy: 8
; WaveLimiterHint : 0
; COMPUTE_PGM_RSRC2:SCRATCH_EN: 0
; COMPUTE_PGM_RSRC2:USER_SGPR: 6
; COMPUTE_PGM_RSRC2:TRAP_HANDLER: 0
; COMPUTE_PGM_RSRC2:TGID_X_EN: 1
; COMPUTE_PGM_RSRC2:TGID_Y_EN: 0
; COMPUTE_PGM_RSRC2:TGID_Z_EN: 0
; COMPUTE_PGM_RSRC2:TIDIG_COMP_CNT: 0
; COMPUTE_PGM_RSRC3_GFX90A:ACCUM_OFFSET: 4
; COMPUTE_PGM_RSRC3_GFX90A:TG_SPLIT: 0
	.section	.text._ZN2at6native12_GLOBAL__N_136reflection_pad1d_backward_out_kernelIN3c107complexIdEEEEvPT_PKS6_lll,"axG",@progbits,_ZN2at6native12_GLOBAL__N_136reflection_pad1d_backward_out_kernelIN3c107complexIdEEEEvPT_PKS6_lll,comdat
	.globl	_ZN2at6native12_GLOBAL__N_136reflection_pad1d_backward_out_kernelIN3c107complexIdEEEEvPT_PKS6_lll ; -- Begin function _ZN2at6native12_GLOBAL__N_136reflection_pad1d_backward_out_kernelIN3c107complexIdEEEEvPT_PKS6_lll
	.p2align	8
	.type	_ZN2at6native12_GLOBAL__N_136reflection_pad1d_backward_out_kernelIN3c107complexIdEEEEvPT_PKS6_lll,@function
_ZN2at6native12_GLOBAL__N_136reflection_pad1d_backward_out_kernelIN3c107complexIdEEEEvPT_PKS6_lll: ; @_ZN2at6native12_GLOBAL__N_136reflection_pad1d_backward_out_kernelIN3c107complexIdEEEEvPT_PKS6_lll
; %bb.0:
	s_load_dword s9, s[4:5], 0x34
	s_load_dwordx2 s[0:1], s[4:5], 0x20
	s_load_dwordx8 s[12:19], s[4:5], 0x0
	s_add_u32 s2, s4, 40
	s_addc_u32 s3, s5, 0
	s_waitcnt lgkmcnt(0)
	s_and_b32 s4, s9, 0xffff
	v_mov_b32_e32 v1, 0
	v_mov_b32_e32 v2, s6
	v_mad_u64_u32 v[0:1], s[4:5], s4, v2, v[0:1]
	s_add_u32 s4, s18, s16
	s_addc_u32 s5, s19, s17
	s_add_u32 s0, s4, s0
	s_addc_u32 s1, s5, s1
	v_cmp_gt_i64_e32 vcc, s[0:1], v[0:1]
	s_and_saveexec_b64 s[10:11], vcc
	s_cbranch_execz .LBB49_5
; %bb.1:
	s_load_dword s6, s[2:3], 0x4
	s_sub_u32 s2, 0, s18
	v_mov_b32_e32 v2, s19
	v_subrev_co_u32_e32 v3, vcc, s18, v0
	s_waitcnt lgkmcnt(0)
	s_mul_i32 s6, s6, s8
	s_subb_u32 s3, 0, s19
	s_add_i32 s8, s6, s7
	v_subb_co_u32_e32 v2, vcc, v1, v2, vcc
	s_mul_i32 s7, s8, s17
	s_mul_hi_u32 s9, s8, s16
	v_ashrrev_i32_e32 v4, 31, v2
	s_add_i32 s7, s9, s7
	s_mul_i32 s1, s1, s8
	s_mul_hi_u32 s9, s0, s8
	v_xor_b32_e32 v5, v2, v4
	v_xor_b32_e32 v2, v3, v4
	s_mul_i32 s6, s8, s16
	s_add_i32 s1, s9, s1
	s_mul_i32 s0, s0, s8
	v_cmp_gt_i64_e64 s[8:9], s[2:3], 0
	v_sub_co_u32_e32 v2, vcc, v2, v4
	s_and_b64 s[8:9], s[8:9], exec
	v_subb_co_u32_e32 v3, vcc, v5, v4, vcc
	s_cselect_b32 s8, s3, 0
	s_cselect_b32 s9, s2, 0
	v_cmp_gt_i64_e64 s[2:3], s[18:19], 0
	v_mov_b32_e32 v4, s5
	v_subrev_co_u32_e32 v5, vcc, s4, v0
	s_and_b64 s[2:3], s[2:3], exec
	v_subb_co_u32_e32 v4, vcc, v1, v4, vcc
	s_cselect_b32 s3, s19, 0
	s_cselect_b32 s2, s18, 0
	v_add_co_u32_e32 v5, vcc, 1, v5
	v_addc_co_u32_e32 v4, vcc, 0, v4, vcc
	s_not_b64 s[2:3], s[2:3]
	v_ashrrev_i32_e32 v6, 31, v4
	s_add_u32 s4, s4, s18
	v_xor_b32_e32 v5, v5, v6
	s_addc_u32 s5, s5, s19
	v_xor_b32_e32 v4, v4, v6
	v_sub_co_u32_e32 v5, vcc, v5, v6
	s_add_u32 s2, s4, s2
	v_subb_co_u32_e32 v4, vcc, v4, v6, vcc
	s_addc_u32 s3, s5, s3
	s_add_u32 s2, s2, s9
	v_add_co_u32_e32 v5, vcc, v0, v5
	s_addc_u32 s3, s3, s8
	v_addc_co_u32_e32 v6, vcc, v1, v4, vcc
	v_mov_b32_e32 v7, s3
	v_sub_co_u32_e32 v4, vcc, s2, v5
	v_subb_co_u32_e32 v5, vcc, v7, v6, vcc
	v_lshlrev_b64 v[4:5], 4, v[4:5]
	v_mov_b32_e32 v6, s13
	v_add_co_u32_e32 v4, vcc, s12, v4
	v_addc_co_u32_e32 v5, vcc, v6, v5, vcc
	v_lshlrev_b64 v[2:3], 4, v[2:3]
	v_add_co_u32_e32 v2, vcc, v4, v2
	v_addc_co_u32_e32 v3, vcc, v5, v3, vcc
	s_lshl_b64 s[2:3], s[6:7], 4
	s_lshl_b64 s[0:1], s[0:1], 4
	v_mov_b32_e32 v4, s3
	v_add_co_u32_e32 v8, vcc, s2, v2
	s_add_u32 s0, s14, s0
	v_addc_co_u32_e32 v9, vcc, v3, v4, vcc
	s_addc_u32 s1, s15, s1
	v_lshlrev_b64 v[0:1], 4, v[0:1]
	v_mov_b32_e32 v2, s1
	v_add_co_u32_e32 v4, vcc, s0, v0
	v_addc_co_u32_e32 v5, vcc, v2, v1, vcc
	global_load_dwordx4 v[0:3], v[4:5], off
	global_load_dwordx2 v[6:7], v[8:9], off
	s_mov_b64 s[0:1], 0
.LBB49_2:                               ; =>This Inner Loop Header: Depth=1
	s_waitcnt vmcnt(0)
	v_add_f64 v[4:5], v[6:7], v[0:1]
	global_atomic_cmpswap_x2 v[4:5], v[8:9], v[4:7], off glc
	s_waitcnt vmcnt(0)
	v_cmp_eq_u64_e32 vcc, v[4:5], v[6:7]
	s_or_b64 s[0:1], vcc, s[0:1]
	v_pk_mov_b32 v[6:7], v[4:5], v[4:5] op_sel:[0,1]
	s_andn2_b64 exec, exec, s[0:1]
	s_cbranch_execnz .LBB49_2
; %bb.3:
	s_or_b64 exec, exec, s[0:1]
	global_load_dwordx2 v[6:7], v[8:9], off offset:8
	s_mov_b64 s[0:1], 0
.LBB49_4:                               ; =>This Inner Loop Header: Depth=1
	s_waitcnt vmcnt(0)
	v_add_f64 v[4:5], v[6:7], v[2:3]
	global_atomic_cmpswap_x2 v[0:1], v[8:9], v[4:7], off offset:8 glc
	s_waitcnt vmcnt(0)
	v_cmp_eq_u64_e32 vcc, v[0:1], v[6:7]
	s_or_b64 s[0:1], vcc, s[0:1]
	v_pk_mov_b32 v[6:7], v[0:1], v[0:1] op_sel:[0,1]
	s_andn2_b64 exec, exec, s[0:1]
	s_cbranch_execnz .LBB49_4
.LBB49_5:
	s_endpgm
	.section	.rodata,"a",@progbits
	.p2align	6, 0x0
	.amdhsa_kernel _ZN2at6native12_GLOBAL__N_136reflection_pad1d_backward_out_kernelIN3c107complexIdEEEEvPT_PKS6_lll
		.amdhsa_group_segment_fixed_size 0
		.amdhsa_private_segment_fixed_size 0
		.amdhsa_kernarg_size 296
		.amdhsa_user_sgpr_count 6
		.amdhsa_user_sgpr_private_segment_buffer 1
		.amdhsa_user_sgpr_dispatch_ptr 0
		.amdhsa_user_sgpr_queue_ptr 0
		.amdhsa_user_sgpr_kernarg_segment_ptr 1
		.amdhsa_user_sgpr_dispatch_id 0
		.amdhsa_user_sgpr_flat_scratch_init 0
		.amdhsa_user_sgpr_kernarg_preload_length 0
		.amdhsa_user_sgpr_kernarg_preload_offset 0
		.amdhsa_user_sgpr_private_segment_size 0
		.amdhsa_uses_dynamic_stack 0
		.amdhsa_system_sgpr_private_segment_wavefront_offset 0
		.amdhsa_system_sgpr_workgroup_id_x 1
		.amdhsa_system_sgpr_workgroup_id_y 1
		.amdhsa_system_sgpr_workgroup_id_z 1
		.amdhsa_system_sgpr_workgroup_info 0
		.amdhsa_system_vgpr_workitem_id 0
		.amdhsa_next_free_vgpr 10
		.amdhsa_next_free_sgpr 20
		.amdhsa_accum_offset 12
		.amdhsa_reserve_vcc 1
		.amdhsa_reserve_flat_scratch 0
		.amdhsa_float_round_mode_32 0
		.amdhsa_float_round_mode_16_64 0
		.amdhsa_float_denorm_mode_32 3
		.amdhsa_float_denorm_mode_16_64 3
		.amdhsa_dx10_clamp 1
		.amdhsa_ieee_mode 1
		.amdhsa_fp16_overflow 0
		.amdhsa_tg_split 0
		.amdhsa_exception_fp_ieee_invalid_op 0
		.amdhsa_exception_fp_denorm_src 0
		.amdhsa_exception_fp_ieee_div_zero 0
		.amdhsa_exception_fp_ieee_overflow 0
		.amdhsa_exception_fp_ieee_underflow 0
		.amdhsa_exception_fp_ieee_inexact 0
		.amdhsa_exception_int_div_zero 0
	.end_amdhsa_kernel
	.section	.text._ZN2at6native12_GLOBAL__N_136reflection_pad1d_backward_out_kernelIN3c107complexIdEEEEvPT_PKS6_lll,"axG",@progbits,_ZN2at6native12_GLOBAL__N_136reflection_pad1d_backward_out_kernelIN3c107complexIdEEEEvPT_PKS6_lll,comdat
.Lfunc_end49:
	.size	_ZN2at6native12_GLOBAL__N_136reflection_pad1d_backward_out_kernelIN3c107complexIdEEEEvPT_PKS6_lll, .Lfunc_end49-_ZN2at6native12_GLOBAL__N_136reflection_pad1d_backward_out_kernelIN3c107complexIdEEEEvPT_PKS6_lll
                                        ; -- End function
	.section	.AMDGPU.csdata,"",@progbits
; Kernel info:
; codeLenInByte = 528
; NumSgprs: 24
; NumVgprs: 10
; NumAgprs: 0
; TotalNumVgprs: 10
; ScratchSize: 0
; MemoryBound: 0
; FloatMode: 240
; IeeeMode: 1
; LDSByteSize: 0 bytes/workgroup (compile time only)
; SGPRBlocks: 2
; VGPRBlocks: 1
; NumSGPRsForWavesPerEU: 24
; NumVGPRsForWavesPerEU: 10
; AccumOffset: 12
; Occupancy: 8
; WaveLimiterHint : 0
; COMPUTE_PGM_RSRC2:SCRATCH_EN: 0
; COMPUTE_PGM_RSRC2:USER_SGPR: 6
; COMPUTE_PGM_RSRC2:TRAP_HANDLER: 0
; COMPUTE_PGM_RSRC2:TGID_X_EN: 1
; COMPUTE_PGM_RSRC2:TGID_Y_EN: 1
; COMPUTE_PGM_RSRC2:TGID_Z_EN: 1
; COMPUTE_PGM_RSRC2:TIDIG_COMP_CNT: 0
; COMPUTE_PGM_RSRC3_GFX90A:ACCUM_OFFSET: 2
; COMPUTE_PGM_RSRC3_GFX90A:TG_SPLIT: 0
	.section	.text._ZN2at6native12_GLOBAL__N_130reflection_pad1d_backward_flatIN3c107complexIdEEEEvPT_PKS6_llll,"axG",@progbits,_ZN2at6native12_GLOBAL__N_130reflection_pad1d_backward_flatIN3c107complexIdEEEEvPT_PKS6_llll,comdat
	.globl	_ZN2at6native12_GLOBAL__N_130reflection_pad1d_backward_flatIN3c107complexIdEEEEvPT_PKS6_llll ; -- Begin function _ZN2at6native12_GLOBAL__N_130reflection_pad1d_backward_flatIN3c107complexIdEEEEvPT_PKS6_llll
	.p2align	8
	.type	_ZN2at6native12_GLOBAL__N_130reflection_pad1d_backward_flatIN3c107complexIdEEEEvPT_PKS6_llll,@function
_ZN2at6native12_GLOBAL__N_130reflection_pad1d_backward_flatIN3c107complexIdEEEEvPT_PKS6_llll: ; @_ZN2at6native12_GLOBAL__N_130reflection_pad1d_backward_flatIN3c107complexIdEEEEvPT_PKS6_llll
; %bb.0:
	s_load_dword s2, s[4:5], 0x3c
	s_load_dwordx8 s[8:15], s[4:5], 0x10
	s_add_u32 s0, s4, 48
	v_mov_b32_e32 v8, 0
	s_addc_u32 s1, s5, 0
	s_waitcnt lgkmcnt(0)
	s_and_b32 s2, s2, 0xffff
	s_mul_i32 s3, s14, s13
	s_mul_hi_u32 s7, s14, s12
	v_mov_b32_e32 v1, v8
	s_add_i32 s3, s7, s3
	s_mul_i32 s7, s15, s12
	v_mov_b32_e32 v2, s6
	s_add_i32 s15, s3, s7
	s_mul_i32 s14, s14, s12
	v_mad_u64_u32 v[10:11], s[6:7], s2, v2, v[0:1]
	v_cmp_gt_i64_e32 vcc, s[14:15], v[10:11]
	s_and_saveexec_b64 s[6:7], vcc
	s_cbranch_execz .LBB50_17
; %bb.1:
	v_cvt_f32_u32_e32 v0, s12
	s_load_dword s3, s[0:1], 0x0
	s_load_dwordx4 s[16:19], s[4:5], 0x0
	s_lshl_b64 s[0:1], s[8:9], 1
	s_add_u32 s4, s0, -2
	v_rcp_iflag_f32_e32 v0, v0
	s_addc_u32 s5, s1, -1
	s_waitcnt lgkmcnt(0)
	s_mul_hi_u32 s28, s2, s3
	s_mul_i32 s29, s2, s3
	v_mul_f32_e32 v0, 0x4f7ffffe, v0
	v_cvt_u32_f32_e32 v14, v0
	s_mov_b64 s[6:7], 0
	s_ashr_i32 s20, s13, 31
	v_cmp_gt_i64_e64 s[22:23], s[4:5], 0
.LBB50_2:                               ; =>This Loop Header: Depth=1
                                        ;     Child Loop BB50_13 Depth 2
                                        ;     Child Loop BB50_15 Depth 2
	v_or_b32_e32 v9, s13, v11
	v_cmp_ne_u64_e32 vcc, 0, v[8:9]
                                        ; implicit-def: $vgpr0_vgpr1
	s_and_saveexec_b64 s[0:1], vcc
	s_xor_b64 s[2:3], exec, s[0:1]
	s_cbranch_execnz .LBB50_5
; %bb.3:                                ;   in Loop: Header=BB50_2 Depth=1
	s_andn2_saveexec_b64 s[0:1], s[2:3]
	s_cbranch_execnz .LBB50_6
.LBB50_4:                               ;   in Loop: Header=BB50_2 Depth=1
	s_or_b64 exec, exec, s[0:1]
	s_andn2_b64 vcc, exec, s[22:23]
	v_pk_mov_b32 v[2:3], 0, 0
	s_cbranch_vccz .LBB50_7
	s_branch .LBB50_12
.LBB50_5:                               ;   in Loop: Header=BB50_2 Depth=1
	s_add_u32 s0, s12, s20
	s_mov_b32 s21, s20
	s_addc_u32 s1, s13, s20
	s_xor_b64 s[24:25], s[0:1], s[20:21]
	v_cvt_f32_u32_e32 v0, s24
	v_cvt_f32_u32_e32 v1, s25
	s_sub_u32 s0, 0, s24
	s_subb_u32 s1, 0, s25
	v_mac_f32_e32 v0, 0x4f800000, v1
	v_rcp_f32_e32 v0, v0
	v_mul_f32_e32 v0, 0x5f7ffffc, v0
	v_mul_f32_e32 v1, 0x2f800000, v0
	v_trunc_f32_e32 v1, v1
	v_mac_f32_e32 v0, 0xcf800000, v1
	v_cvt_u32_f32_e32 v1, v1
	v_cvt_u32_f32_e32 v0, v0
	v_mul_lo_u32 v2, s0, v1
	v_mul_hi_u32 v4, s0, v0
	v_mul_lo_u32 v3, s1, v0
	v_add_u32_e32 v2, v4, v2
	v_mul_lo_u32 v5, s0, v0
	v_add_u32_e32 v2, v2, v3
	v_mul_lo_u32 v4, v0, v2
	v_mul_hi_u32 v6, v0, v5
	v_mul_hi_u32 v3, v0, v2
	v_add_co_u32_e32 v4, vcc, v6, v4
	v_addc_co_u32_e32 v3, vcc, 0, v3, vcc
	v_mul_hi_u32 v7, v1, v5
	v_mul_lo_u32 v5, v1, v5
	v_add_co_u32_e32 v4, vcc, v4, v5
	v_mul_hi_u32 v6, v1, v2
	v_addc_co_u32_e32 v3, vcc, v3, v7, vcc
	v_addc_co_u32_e32 v4, vcc, 0, v6, vcc
	v_mul_lo_u32 v2, v1, v2
	v_add_co_u32_e32 v2, vcc, v3, v2
	v_addc_co_u32_e32 v3, vcc, 0, v4, vcc
	v_add_co_u32_e32 v0, vcc, v0, v2
	v_addc_co_u32_e32 v1, vcc, v1, v3, vcc
	v_mul_lo_u32 v2, s0, v1
	v_mul_hi_u32 v3, s0, v0
	v_add_u32_e32 v2, v3, v2
	v_mul_lo_u32 v3, s1, v0
	v_add_u32_e32 v2, v2, v3
	v_mul_lo_u32 v4, s0, v0
	v_mul_hi_u32 v5, v1, v4
	v_mul_lo_u32 v6, v1, v4
	v_mul_lo_u32 v9, v0, v2
	v_mul_hi_u32 v4, v0, v4
	v_mul_hi_u32 v7, v0, v2
	v_add_co_u32_e32 v4, vcc, v4, v9
	v_addc_co_u32_e32 v7, vcc, 0, v7, vcc
	v_add_co_u32_e32 v4, vcc, v4, v6
	v_mul_hi_u32 v3, v1, v2
	v_addc_co_u32_e32 v4, vcc, v7, v5, vcc
	v_addc_co_u32_e32 v3, vcc, 0, v3, vcc
	v_mul_lo_u32 v2, v1, v2
	v_add_co_u32_e32 v2, vcc, v4, v2
	v_addc_co_u32_e32 v3, vcc, 0, v3, vcc
	v_add_co_u32_e32 v2, vcc, v0, v2
	v_addc_co_u32_e32 v3, vcc, v1, v3, vcc
	v_ashrrev_i32_e32 v4, 31, v11
	v_add_co_u32_e32 v0, vcc, v10, v4
	v_addc_co_u32_e32 v1, vcc, v11, v4, vcc
	v_xor_b32_e32 v6, v0, v4
	v_xor_b32_e32 v5, v1, v4
	v_mad_u64_u32 v[0:1], s[0:1], v6, v3, 0
	v_mul_hi_u32 v7, v6, v2
	v_add_co_u32_e32 v7, vcc, v7, v0
	v_addc_co_u32_e32 v9, vcc, 0, v1, vcc
	v_mad_u64_u32 v[0:1], s[0:1], v5, v3, 0
	v_mad_u64_u32 v[2:3], s[0:1], v5, v2, 0
	v_add_co_u32_e32 v2, vcc, v7, v2
	v_addc_co_u32_e32 v2, vcc, v9, v3, vcc
	v_addc_co_u32_e32 v1, vcc, 0, v1, vcc
	v_add_co_u32_e32 v2, vcc, v2, v0
	v_addc_co_u32_e32 v3, vcc, 0, v1, vcc
	v_mul_lo_u32 v7, s25, v2
	v_mul_lo_u32 v9, s24, v3
	v_mad_u64_u32 v[0:1], s[0:1], s24, v2, 0
	v_add3_u32 v1, v1, v9, v7
	v_sub_u32_e32 v7, v5, v1
	v_mov_b32_e32 v9, s25
	v_sub_co_u32_e32 v0, vcc, v6, v0
	v_subb_co_u32_e64 v6, s[0:1], v7, v9, vcc
	v_subrev_co_u32_e64 v7, s[0:1], s24, v0
	v_subbrev_co_u32_e64 v6, s[0:1], 0, v6, s[0:1]
	v_cmp_le_u32_e64 s[0:1], s25, v6
	v_cndmask_b32_e64 v9, 0, -1, s[0:1]
	v_cmp_le_u32_e64 s[0:1], s24, v7
	v_cndmask_b32_e64 v7, 0, -1, s[0:1]
	v_cmp_eq_u32_e64 s[0:1], s25, v6
	v_cndmask_b32_e64 v6, v9, v7, s[0:1]
	v_add_co_u32_e64 v7, s[0:1], 2, v2
	v_subb_co_u32_e32 v1, vcc, v5, v1, vcc
	v_addc_co_u32_e64 v9, s[0:1], 0, v3, s[0:1]
	v_cmp_le_u32_e32 vcc, s25, v1
	v_add_co_u32_e64 v12, s[0:1], 1, v2
	v_cndmask_b32_e64 v5, 0, -1, vcc
	v_cmp_le_u32_e32 vcc, s24, v0
	v_addc_co_u32_e64 v13, s[0:1], 0, v3, s[0:1]
	v_cndmask_b32_e64 v0, 0, -1, vcc
	v_cmp_eq_u32_e32 vcc, s25, v1
	v_cmp_ne_u32_e64 s[0:1], 0, v6
	v_cndmask_b32_e32 v0, v5, v0, vcc
	v_cndmask_b32_e64 v6, v13, v9, s[0:1]
	v_cmp_ne_u32_e32 vcc, 0, v0
	v_cndmask_b32_e64 v1, v12, v7, s[0:1]
	v_cndmask_b32_e32 v0, v3, v6, vcc
	v_cndmask_b32_e32 v1, v2, v1, vcc
	v_xor_b32_e32 v2, s20, v4
	v_xor_b32_e32 v3, v0, v2
	;; [unrolled: 1-line block ×3, first 2 shown]
	v_sub_co_u32_e32 v0, vcc, v0, v2
	v_subb_co_u32_e32 v1, vcc, v3, v2, vcc
	s_andn2_saveexec_b64 s[0:1], s[2:3]
	s_cbranch_execz .LBB50_4
.LBB50_6:                               ;   in Loop: Header=BB50_2 Depth=1
	s_sub_i32 s2, 0, s12
	v_mul_lo_u32 v0, s2, v14
	v_mul_hi_u32 v0, v14, v0
	v_add_u32_e32 v0, v14, v0
	v_mul_hi_u32 v0, v10, v0
	v_mul_lo_u32 v1, v0, s12
	v_sub_u32_e32 v1, v10, v1
	v_subrev_u32_e32 v2, s12, v1
	v_cmp_le_u32_e32 vcc, s12, v1
	v_cndmask_b32_e32 v1, v1, v2, vcc
	v_add_u32_e32 v2, 1, v0
	v_cndmask_b32_e32 v0, v0, v2, vcc
	v_add_u32_e32 v2, 1, v0
	v_cmp_le_u32_e32 vcc, s12, v1
	v_cndmask_b32_e32 v0, v0, v2, vcc
	v_mov_b32_e32 v1, v8
	s_or_b64 exec, exec, s[0:1]
	s_andn2_b64 vcc, exec, s[22:23]
	v_pk_mov_b32 v[2:3], 0, 0
	s_cbranch_vccnz .LBB50_12
.LBB50_7:                               ;   in Loop: Header=BB50_2 Depth=1
	v_pk_mov_b32 v[2:3], s[10:11], s[10:11] op_sel:[0,1]
	v_mad_u64_u32 v[2:3], s[0:1], v0, s12, v[2:3]
	v_mul_lo_u32 v4, v0, s13
	v_mul_lo_u32 v5, v1, s12
	v_add3_u32 v3, v5, v3, v4
	v_sub_co_u32_e32 v4, vcc, v10, v2
	v_subb_co_u32_e32 v5, vcc, v11, v3, vcc
	v_or_b32_e32 v9, s5, v5
	v_cmp_ne_u64_e32 vcc, 0, v[8:9]
                                        ; implicit-def: $vgpr2_vgpr3
	s_and_saveexec_b64 s[0:1], vcc
	s_xor_b64 s[24:25], exec, s[0:1]
	s_cbranch_execz .LBB50_9
; %bb.8:                                ;   in Loop: Header=BB50_2 Depth=1
	s_ashr_i32 s0, s5, 31
	s_add_u32 s2, s4, s0
	s_mov_b32 s1, s0
	s_addc_u32 s3, s5, s0
	s_xor_b64 s[26:27], s[2:3], s[0:1]
	v_cvt_f32_u32_e32 v2, s26
	v_cvt_f32_u32_e32 v3, s27
	s_sub_u32 s0, 0, s26
	s_subb_u32 s1, 0, s27
	v_mac_f32_e32 v2, 0x4f800000, v3
	v_rcp_f32_e32 v2, v2
	v_mul_f32_e32 v2, 0x5f7ffffc, v2
	v_mul_f32_e32 v3, 0x2f800000, v2
	v_trunc_f32_e32 v3, v3
	v_mac_f32_e32 v2, 0xcf800000, v3
	v_cvt_u32_f32_e32 v3, v3
	v_cvt_u32_f32_e32 v2, v2
	v_mul_lo_u32 v6, s0, v3
	v_mul_hi_u32 v9, s0, v2
	v_mul_lo_u32 v7, s1, v2
	v_add_u32_e32 v6, v9, v6
	v_mul_lo_u32 v12, s0, v2
	v_add_u32_e32 v6, v6, v7
	v_mul_lo_u32 v9, v2, v6
	v_mul_hi_u32 v13, v2, v12
	v_mul_hi_u32 v7, v2, v6
	v_add_co_u32_e32 v9, vcc, v13, v9
	v_addc_co_u32_e32 v7, vcc, 0, v7, vcc
	v_mul_hi_u32 v15, v3, v12
	v_mul_lo_u32 v12, v3, v12
	v_add_co_u32_e32 v9, vcc, v9, v12
	v_mul_hi_u32 v13, v3, v6
	v_addc_co_u32_e32 v7, vcc, v7, v15, vcc
	v_addc_co_u32_e32 v9, vcc, 0, v13, vcc
	v_mul_lo_u32 v6, v3, v6
	v_add_co_u32_e32 v6, vcc, v7, v6
	v_addc_co_u32_e32 v7, vcc, 0, v9, vcc
	v_add_co_u32_e32 v2, vcc, v2, v6
	v_addc_co_u32_e32 v3, vcc, v3, v7, vcc
	v_mul_lo_u32 v6, s0, v3
	v_mul_hi_u32 v7, s0, v2
	v_add_u32_e32 v6, v7, v6
	v_mul_lo_u32 v7, s1, v2
	v_add_u32_e32 v6, v6, v7
	v_mul_lo_u32 v9, s0, v2
	v_mul_hi_u32 v12, v3, v9
	v_mul_lo_u32 v13, v3, v9
	v_mul_lo_u32 v16, v2, v6
	v_mul_hi_u32 v9, v2, v9
	v_mul_hi_u32 v15, v2, v6
	v_add_co_u32_e32 v9, vcc, v9, v16
	v_addc_co_u32_e32 v15, vcc, 0, v15, vcc
	v_add_co_u32_e32 v9, vcc, v9, v13
	v_mul_hi_u32 v7, v3, v6
	v_addc_co_u32_e32 v9, vcc, v15, v12, vcc
	v_addc_co_u32_e32 v7, vcc, 0, v7, vcc
	v_mul_lo_u32 v6, v3, v6
	v_add_co_u32_e32 v6, vcc, v9, v6
	v_addc_co_u32_e32 v7, vcc, 0, v7, vcc
	v_add_co_u32_e32 v6, vcc, v2, v6
	v_addc_co_u32_e32 v7, vcc, v3, v7, vcc
	v_ashrrev_i32_e32 v9, 31, v5
	v_add_co_u32_e32 v2, vcc, v4, v9
	v_addc_co_u32_e32 v3, vcc, v5, v9, vcc
	v_xor_b32_e32 v13, v2, v9
	v_xor_b32_e32 v12, v3, v9
	v_mad_u64_u32 v[2:3], s[0:1], v13, v7, 0
	v_mul_hi_u32 v4, v13, v6
	v_add_co_u32_e32 v15, vcc, v4, v2
	v_addc_co_u32_e32 v16, vcc, 0, v3, vcc
	v_mad_u64_u32 v[4:5], s[0:1], v12, v6, 0
	v_add_co_u32_e32 v4, vcc, v15, v4
	v_mad_u64_u32 v[2:3], s[0:1], v12, v7, 0
	v_addc_co_u32_e32 v4, vcc, v16, v5, vcc
	v_addc_co_u32_e32 v3, vcc, 0, v3, vcc
	v_add_co_u32_e32 v2, vcc, v4, v2
	v_addc_co_u32_e32 v3, vcc, 0, v3, vcc
	v_mul_lo_u32 v4, s27, v2
	v_mul_lo_u32 v5, s26, v3
	v_mad_u64_u32 v[2:3], s[0:1], s26, v2, 0
	v_add3_u32 v3, v3, v5, v4
	v_sub_u32_e32 v4, v12, v3
	v_mov_b32_e32 v5, s27
	v_sub_co_u32_e32 v2, vcc, v13, v2
	v_subb_co_u32_e64 v4, s[0:1], v4, v5, vcc
	v_subrev_co_u32_e64 v6, s[0:1], s26, v2
	v_subbrev_co_u32_e64 v7, s[2:3], 0, v4, s[0:1]
	v_cmp_le_u32_e64 s[2:3], s27, v7
	v_cndmask_b32_e64 v13, 0, -1, s[2:3]
	v_cmp_le_u32_e64 s[2:3], s26, v6
	v_subb_co_u32_e64 v4, s[0:1], v4, v5, s[0:1]
	v_cndmask_b32_e64 v15, 0, -1, s[2:3]
	v_cmp_eq_u32_e64 s[2:3], s27, v7
	v_subrev_co_u32_e64 v5, s[0:1], s26, v6
	v_cndmask_b32_e64 v13, v13, v15, s[2:3]
	v_subbrev_co_u32_e64 v4, s[0:1], 0, v4, s[0:1]
	v_subb_co_u32_e32 v3, vcc, v12, v3, vcc
	v_cmp_ne_u32_e64 s[0:1], 0, v13
	v_cmp_le_u32_e32 vcc, s27, v3
	v_cndmask_b32_e64 v4, v7, v4, s[0:1]
	v_cndmask_b32_e64 v7, 0, -1, vcc
	v_cmp_le_u32_e32 vcc, s26, v2
	v_cndmask_b32_e64 v12, 0, -1, vcc
	v_cmp_eq_u32_e32 vcc, s27, v3
	v_cndmask_b32_e32 v7, v7, v12, vcc
	v_cmp_ne_u32_e32 vcc, 0, v7
	v_cndmask_b32_e32 v3, v3, v4, vcc
	v_cndmask_b32_e64 v4, v6, v5, s[0:1]
	v_cndmask_b32_e32 v2, v2, v4, vcc
	v_xor_b32_e32 v2, v2, v9
	v_xor_b32_e32 v3, v3, v9
	v_sub_co_u32_e32 v2, vcc, v2, v9
	v_subb_co_u32_e32 v3, vcc, v3, v9, vcc
                                        ; implicit-def: $vgpr4
.LBB50_9:                               ;   in Loop: Header=BB50_2 Depth=1
	s_andn2_saveexec_b64 s[0:1], s[24:25]
	s_cbranch_execz .LBB50_11
; %bb.10:                               ;   in Loop: Header=BB50_2 Depth=1
	v_cvt_f32_u32_e32 v2, s4
	s_sub_i32 s2, 0, s4
	v_rcp_iflag_f32_e32 v2, v2
	v_mul_f32_e32 v2, 0x4f7ffffe, v2
	v_cvt_u32_f32_e32 v2, v2
	v_mul_lo_u32 v3, s2, v2
	v_mul_hi_u32 v3, v2, v3
	v_add_u32_e32 v2, v2, v3
	v_mul_hi_u32 v2, v4, v2
	v_mul_lo_u32 v2, v2, s4
	v_sub_u32_e32 v2, v4, v2
	v_subrev_u32_e32 v3, s4, v2
	v_cmp_le_u32_e32 vcc, s4, v2
	v_cndmask_b32_e32 v2, v2, v3, vcc
	v_subrev_u32_e32 v3, s4, v2
	v_cmp_le_u32_e32 vcc, s4, v2
	v_cndmask_b32_e32 v2, v2, v3, vcc
	v_mov_b32_e32 v3, v8
.LBB50_11:                              ;   in Loop: Header=BB50_2 Depth=1
	s_or_b64 exec, exec, s[0:1]
	v_ashrrev_i32_e32 v4, 31, v3
	v_and_b32_e32 v5, s5, v4
	v_and_b32_e32 v4, s4, v4
	v_add_co_u32_e32 v2, vcc, v4, v2
	v_addc_co_u32_e32 v3, vcc, v5, v3, vcc
	v_mov_b32_e32 v4, s5
	v_sub_co_u32_e32 v5, vcc, s4, v2
	v_subb_co_u32_e32 v4, vcc, v4, v3, vcc
	v_cmp_gt_i64_e32 vcc, s[8:9], v[2:3]
	v_cndmask_b32_e32 v3, v4, v3, vcc
	v_cndmask_b32_e32 v2, v5, v2, vcc
.LBB50_12:                              ;   in Loop: Header=BB50_2 Depth=1
	v_mul_lo_u32 v4, v1, s8
	v_mul_lo_u32 v5, v0, s9
	v_mad_u64_u32 v[0:1], s[0:1], v0, s8, 0
	v_add3_u32 v1, v1, v5, v4
	v_lshlrev_b64 v[0:1], 4, v[0:1]
	v_mov_b32_e32 v4, s17
	v_add_co_u32_e32 v5, vcc, s16, v0
	v_addc_co_u32_e32 v4, vcc, v4, v1, vcc
	v_lshlrev_b64 v[0:1], 4, v[2:3]
	v_add_co_u32_e32 v12, vcc, v5, v0
	v_addc_co_u32_e32 v13, vcc, v4, v1, vcc
	v_lshlrev_b64 v[0:1], 4, v[10:11]
	v_mov_b32_e32 v2, s19
	v_add_co_u32_e32 v4, vcc, s18, v0
	v_addc_co_u32_e32 v5, vcc, v2, v1, vcc
	global_load_dwordx4 v[0:3], v[4:5], off
	global_load_dwordx2 v[6:7], v[12:13], off
	s_mov_b64 s[0:1], 0
.LBB50_13:                              ;   Parent Loop BB50_2 Depth=1
                                        ; =>  This Inner Loop Header: Depth=2
	s_waitcnt vmcnt(0)
	v_add_f64 v[4:5], v[6:7], v[0:1]
	global_atomic_cmpswap_x2 v[4:5], v[12:13], v[4:7], off glc
	s_waitcnt vmcnt(0)
	v_cmp_eq_u64_e32 vcc, v[4:5], v[6:7]
	s_or_b64 s[0:1], vcc, s[0:1]
	v_pk_mov_b32 v[6:7], v[4:5], v[4:5] op_sel:[0,1]
	s_andn2_b64 exec, exec, s[0:1]
	s_cbranch_execnz .LBB50_13
; %bb.14:                               ;   in Loop: Header=BB50_2 Depth=1
	s_or_b64 exec, exec, s[0:1]
	global_load_dwordx2 v[6:7], v[12:13], off offset:8
	s_mov_b64 s[0:1], 0
.LBB50_15:                              ;   Parent Loop BB50_2 Depth=1
                                        ; =>  This Inner Loop Header: Depth=2
	s_waitcnt vmcnt(0)
	v_add_f64 v[4:5], v[6:7], v[2:3]
	global_atomic_cmpswap_x2 v[0:1], v[12:13], v[4:7], off offset:8 glc
	s_waitcnt vmcnt(0)
	v_cmp_eq_u64_e32 vcc, v[0:1], v[6:7]
	s_or_b64 s[0:1], vcc, s[0:1]
	v_pk_mov_b32 v[6:7], v[0:1], v[0:1] op_sel:[0,1]
	s_andn2_b64 exec, exec, s[0:1]
	s_cbranch_execnz .LBB50_15
; %bb.16:                               ;   in Loop: Header=BB50_2 Depth=1
	s_or_b64 exec, exec, s[0:1]
	v_mov_b32_e32 v0, s28
	v_add_co_u32_e32 v10, vcc, s29, v10
	v_addc_co_u32_e32 v11, vcc, v11, v0, vcc
	v_cmp_le_i64_e32 vcc, s[14:15], v[10:11]
	s_or_b64 s[6:7], vcc, s[6:7]
	s_andn2_b64 exec, exec, s[6:7]
	s_cbranch_execnz .LBB50_2
.LBB50_17:
	s_endpgm
	.section	.rodata,"a",@progbits
	.p2align	6, 0x0
	.amdhsa_kernel _ZN2at6native12_GLOBAL__N_130reflection_pad1d_backward_flatIN3c107complexIdEEEEvPT_PKS6_llll
		.amdhsa_group_segment_fixed_size 0
		.amdhsa_private_segment_fixed_size 0
		.amdhsa_kernarg_size 304
		.amdhsa_user_sgpr_count 6
		.amdhsa_user_sgpr_private_segment_buffer 1
		.amdhsa_user_sgpr_dispatch_ptr 0
		.amdhsa_user_sgpr_queue_ptr 0
		.amdhsa_user_sgpr_kernarg_segment_ptr 1
		.amdhsa_user_sgpr_dispatch_id 0
		.amdhsa_user_sgpr_flat_scratch_init 0
		.amdhsa_user_sgpr_kernarg_preload_length 0
		.amdhsa_user_sgpr_kernarg_preload_offset 0
		.amdhsa_user_sgpr_private_segment_size 0
		.amdhsa_uses_dynamic_stack 0
		.amdhsa_system_sgpr_private_segment_wavefront_offset 0
		.amdhsa_system_sgpr_workgroup_id_x 1
		.amdhsa_system_sgpr_workgroup_id_y 0
		.amdhsa_system_sgpr_workgroup_id_z 0
		.amdhsa_system_sgpr_workgroup_info 0
		.amdhsa_system_vgpr_workitem_id 0
		.amdhsa_next_free_vgpr 17
		.amdhsa_next_free_sgpr 30
		.amdhsa_accum_offset 20
		.amdhsa_reserve_vcc 1
		.amdhsa_reserve_flat_scratch 0
		.amdhsa_float_round_mode_32 0
		.amdhsa_float_round_mode_16_64 0
		.amdhsa_float_denorm_mode_32 3
		.amdhsa_float_denorm_mode_16_64 3
		.amdhsa_dx10_clamp 1
		.amdhsa_ieee_mode 1
		.amdhsa_fp16_overflow 0
		.amdhsa_tg_split 0
		.amdhsa_exception_fp_ieee_invalid_op 0
		.amdhsa_exception_fp_denorm_src 0
		.amdhsa_exception_fp_ieee_div_zero 0
		.amdhsa_exception_fp_ieee_overflow 0
		.amdhsa_exception_fp_ieee_underflow 0
		.amdhsa_exception_fp_ieee_inexact 0
		.amdhsa_exception_int_div_zero 0
	.end_amdhsa_kernel
	.section	.text._ZN2at6native12_GLOBAL__N_130reflection_pad1d_backward_flatIN3c107complexIdEEEEvPT_PKS6_llll,"axG",@progbits,_ZN2at6native12_GLOBAL__N_130reflection_pad1d_backward_flatIN3c107complexIdEEEEvPT_PKS6_llll,comdat
.Lfunc_end50:
	.size	_ZN2at6native12_GLOBAL__N_130reflection_pad1d_backward_flatIN3c107complexIdEEEEvPT_PKS6_llll, .Lfunc_end50-_ZN2at6native12_GLOBAL__N_130reflection_pad1d_backward_flatIN3c107complexIdEEEEvPT_PKS6_llll
                                        ; -- End function
	.section	.AMDGPU.csdata,"",@progbits
; Kernel info:
; codeLenInByte = 2120
; NumSgprs: 34
; NumVgprs: 17
; NumAgprs: 0
; TotalNumVgprs: 17
; ScratchSize: 0
; MemoryBound: 0
; FloatMode: 240
; IeeeMode: 1
; LDSByteSize: 0 bytes/workgroup (compile time only)
; SGPRBlocks: 4
; VGPRBlocks: 2
; NumSGPRsForWavesPerEU: 34
; NumVGPRsForWavesPerEU: 17
; AccumOffset: 20
; Occupancy: 8
; WaveLimiterHint : 0
; COMPUTE_PGM_RSRC2:SCRATCH_EN: 0
; COMPUTE_PGM_RSRC2:USER_SGPR: 6
; COMPUTE_PGM_RSRC2:TRAP_HANDLER: 0
; COMPUTE_PGM_RSRC2:TGID_X_EN: 1
; COMPUTE_PGM_RSRC2:TGID_Y_EN: 0
; COMPUTE_PGM_RSRC2:TGID_Z_EN: 0
; COMPUTE_PGM_RSRC2:TIDIG_COMP_CNT: 0
; COMPUTE_PGM_RSRC3_GFX90A:ACCUM_OFFSET: 4
; COMPUTE_PGM_RSRC3_GFX90A:TG_SPLIT: 0
	.section	.text._ZN2at6native12_GLOBAL__N_136reflection_pad1d_backward_out_kernelIN3c107complexIfEEEEvPT_PKS6_lll,"axG",@progbits,_ZN2at6native12_GLOBAL__N_136reflection_pad1d_backward_out_kernelIN3c107complexIfEEEEvPT_PKS6_lll,comdat
	.globl	_ZN2at6native12_GLOBAL__N_136reflection_pad1d_backward_out_kernelIN3c107complexIfEEEEvPT_PKS6_lll ; -- Begin function _ZN2at6native12_GLOBAL__N_136reflection_pad1d_backward_out_kernelIN3c107complexIfEEEEvPT_PKS6_lll
	.p2align	8
	.type	_ZN2at6native12_GLOBAL__N_136reflection_pad1d_backward_out_kernelIN3c107complexIfEEEEvPT_PKS6_lll,@function
_ZN2at6native12_GLOBAL__N_136reflection_pad1d_backward_out_kernelIN3c107complexIfEEEEvPT_PKS6_lll: ; @_ZN2at6native12_GLOBAL__N_136reflection_pad1d_backward_out_kernelIN3c107complexIfEEEEvPT_PKS6_lll
; %bb.0:
	s_load_dword s9, s[4:5], 0x34
	s_load_dwordx2 s[0:1], s[4:5], 0x20
	s_load_dwordx8 s[12:19], s[4:5], 0x0
	s_add_u32 s2, s4, 40
	s_addc_u32 s3, s5, 0
	s_waitcnt lgkmcnt(0)
	s_and_b32 s4, s9, 0xffff
	v_mov_b32_e32 v1, 0
	v_mov_b32_e32 v2, s6
	v_mad_u64_u32 v[0:1], s[4:5], s4, v2, v[0:1]
	s_add_u32 s4, s18, s16
	s_addc_u32 s5, s19, s17
	s_add_u32 s0, s4, s0
	s_addc_u32 s1, s5, s1
	v_cmp_gt_i64_e32 vcc, s[0:1], v[0:1]
	s_and_saveexec_b64 s[10:11], vcc
	s_cbranch_execz .LBB51_5
; %bb.1:
	s_load_dword s6, s[2:3], 0x4
	s_sub_u32 s2, 0, s18
	v_mov_b32_e32 v2, s19
	v_subrev_co_u32_e32 v3, vcc, s18, v0
	s_waitcnt lgkmcnt(0)
	s_mul_i32 s6, s6, s8
	s_subb_u32 s3, 0, s19
	s_add_i32 s8, s6, s7
	v_subb_co_u32_e32 v2, vcc, v1, v2, vcc
	s_mul_i32 s7, s8, s17
	s_mul_hi_u32 s9, s8, s16
	v_ashrrev_i32_e32 v4, 31, v2
	s_add_i32 s7, s9, s7
	s_mul_i32 s1, s1, s8
	s_mul_hi_u32 s9, s0, s8
	v_xor_b32_e32 v5, v2, v4
	v_xor_b32_e32 v2, v3, v4
	s_mul_i32 s6, s8, s16
	s_add_i32 s1, s9, s1
	s_mul_i32 s0, s0, s8
	v_cmp_gt_i64_e64 s[8:9], s[2:3], 0
	v_sub_co_u32_e32 v2, vcc, v2, v4
	s_and_b64 s[8:9], s[8:9], exec
	v_subb_co_u32_e32 v3, vcc, v5, v4, vcc
	s_cselect_b32 s8, s3, 0
	s_cselect_b32 s9, s2, 0
	v_cmp_gt_i64_e64 s[2:3], s[18:19], 0
	v_mov_b32_e32 v4, s5
	v_subrev_co_u32_e32 v5, vcc, s4, v0
	s_and_b64 s[2:3], s[2:3], exec
	v_subb_co_u32_e32 v4, vcc, v1, v4, vcc
	s_cselect_b32 s3, s19, 0
	s_cselect_b32 s2, s18, 0
	v_add_co_u32_e32 v5, vcc, 1, v5
	v_addc_co_u32_e32 v4, vcc, 0, v4, vcc
	s_not_b64 s[2:3], s[2:3]
	v_ashrrev_i32_e32 v6, 31, v4
	s_add_u32 s4, s4, s18
	v_xor_b32_e32 v5, v5, v6
	s_addc_u32 s5, s5, s19
	v_xor_b32_e32 v4, v4, v6
	v_sub_co_u32_e32 v5, vcc, v5, v6
	s_add_u32 s2, s4, s2
	v_subb_co_u32_e32 v4, vcc, v4, v6, vcc
	s_addc_u32 s3, s5, s3
	s_add_u32 s2, s2, s9
	v_add_co_u32_e32 v5, vcc, v0, v5
	s_addc_u32 s3, s3, s8
	v_addc_co_u32_e32 v6, vcc, v1, v4, vcc
	v_mov_b32_e32 v7, s3
	v_sub_co_u32_e32 v4, vcc, s2, v5
	v_subb_co_u32_e32 v5, vcc, v7, v6, vcc
	v_lshlrev_b64 v[4:5], 3, v[4:5]
	v_mov_b32_e32 v6, s13
	v_add_co_u32_e32 v4, vcc, s12, v4
	v_addc_co_u32_e32 v5, vcc, v6, v5, vcc
	v_lshlrev_b64 v[2:3], 3, v[2:3]
	v_add_co_u32_e32 v2, vcc, v4, v2
	v_addc_co_u32_e32 v3, vcc, v5, v3, vcc
	s_lshl_b64 s[2:3], s[6:7], 3
	s_lshl_b64 s[0:1], s[0:1], 3
	v_mov_b32_e32 v4, s3
	v_add_co_u32_e32 v2, vcc, s2, v2
	s_add_u32 s0, s14, s0
	v_addc_co_u32_e32 v3, vcc, v3, v4, vcc
	s_addc_u32 s1, s15, s1
	v_lshlrev_b64 v[0:1], 3, v[0:1]
	v_mov_b32_e32 v4, s1
	v_add_co_u32_e32 v6, vcc, s0, v0
	v_addc_co_u32_e32 v7, vcc, v4, v1, vcc
	global_load_dwordx2 v[0:1], v[6:7], off
	global_load_dword v5, v[2:3], off
	s_mov_b64 s[0:1], 0
.LBB51_2:                               ; =>This Inner Loop Header: Depth=1
	s_waitcnt vmcnt(0)
	v_add_f32_e32 v4, v5, v0
	global_atomic_cmpswap v4, v[2:3], v[4:5], off glc
	s_waitcnt vmcnt(0)
	v_cmp_eq_u32_e32 vcc, v4, v5
	s_or_b64 s[0:1], vcc, s[0:1]
	v_mov_b32_e32 v5, v4
	s_andn2_b64 exec, exec, s[0:1]
	s_cbranch_execnz .LBB51_2
; %bb.3:
	s_or_b64 exec, exec, s[0:1]
	global_load_dword v5, v[2:3], off offset:4
	s_mov_b64 s[0:1], 0
.LBB51_4:                               ; =>This Inner Loop Header: Depth=1
	s_waitcnt vmcnt(0)
	v_add_f32_e32 v4, v5, v1
	global_atomic_cmpswap v0, v[2:3], v[4:5], off offset:4 glc
	s_waitcnt vmcnt(0)
	v_cmp_eq_u32_e32 vcc, v0, v5
	s_or_b64 s[0:1], vcc, s[0:1]
	v_mov_b32_e32 v5, v0
	s_andn2_b64 exec, exec, s[0:1]
	s_cbranch_execnz .LBB51_4
.LBB51_5:
	s_endpgm
	.section	.rodata,"a",@progbits
	.p2align	6, 0x0
	.amdhsa_kernel _ZN2at6native12_GLOBAL__N_136reflection_pad1d_backward_out_kernelIN3c107complexIfEEEEvPT_PKS6_lll
		.amdhsa_group_segment_fixed_size 0
		.amdhsa_private_segment_fixed_size 0
		.amdhsa_kernarg_size 296
		.amdhsa_user_sgpr_count 6
		.amdhsa_user_sgpr_private_segment_buffer 1
		.amdhsa_user_sgpr_dispatch_ptr 0
		.amdhsa_user_sgpr_queue_ptr 0
		.amdhsa_user_sgpr_kernarg_segment_ptr 1
		.amdhsa_user_sgpr_dispatch_id 0
		.amdhsa_user_sgpr_flat_scratch_init 0
		.amdhsa_user_sgpr_kernarg_preload_length 0
		.amdhsa_user_sgpr_kernarg_preload_offset 0
		.amdhsa_user_sgpr_private_segment_size 0
		.amdhsa_uses_dynamic_stack 0
		.amdhsa_system_sgpr_private_segment_wavefront_offset 0
		.amdhsa_system_sgpr_workgroup_id_x 1
		.amdhsa_system_sgpr_workgroup_id_y 1
		.amdhsa_system_sgpr_workgroup_id_z 1
		.amdhsa_system_sgpr_workgroup_info 0
		.amdhsa_system_vgpr_workitem_id 0
		.amdhsa_next_free_vgpr 8
		.amdhsa_next_free_sgpr 20
		.amdhsa_accum_offset 8
		.amdhsa_reserve_vcc 1
		.amdhsa_reserve_flat_scratch 0
		.amdhsa_float_round_mode_32 0
		.amdhsa_float_round_mode_16_64 0
		.amdhsa_float_denorm_mode_32 3
		.amdhsa_float_denorm_mode_16_64 3
		.amdhsa_dx10_clamp 1
		.amdhsa_ieee_mode 1
		.amdhsa_fp16_overflow 0
		.amdhsa_tg_split 0
		.amdhsa_exception_fp_ieee_invalid_op 0
		.amdhsa_exception_fp_denorm_src 0
		.amdhsa_exception_fp_ieee_div_zero 0
		.amdhsa_exception_fp_ieee_overflow 0
		.amdhsa_exception_fp_ieee_underflow 0
		.amdhsa_exception_fp_ieee_inexact 0
		.amdhsa_exception_int_div_zero 0
	.end_amdhsa_kernel
	.section	.text._ZN2at6native12_GLOBAL__N_136reflection_pad1d_backward_out_kernelIN3c107complexIfEEEEvPT_PKS6_lll,"axG",@progbits,_ZN2at6native12_GLOBAL__N_136reflection_pad1d_backward_out_kernelIN3c107complexIfEEEEvPT_PKS6_lll,comdat
.Lfunc_end51:
	.size	_ZN2at6native12_GLOBAL__N_136reflection_pad1d_backward_out_kernelIN3c107complexIfEEEEvPT_PKS6_lll, .Lfunc_end51-_ZN2at6native12_GLOBAL__N_136reflection_pad1d_backward_out_kernelIN3c107complexIfEEEEvPT_PKS6_lll
                                        ; -- End function
	.section	.AMDGPU.csdata,"",@progbits
; Kernel info:
; codeLenInByte = 512
; NumSgprs: 24
; NumVgprs: 8
; NumAgprs: 0
; TotalNumVgprs: 8
; ScratchSize: 0
; MemoryBound: 0
; FloatMode: 240
; IeeeMode: 1
; LDSByteSize: 0 bytes/workgroup (compile time only)
; SGPRBlocks: 2
; VGPRBlocks: 0
; NumSGPRsForWavesPerEU: 24
; NumVGPRsForWavesPerEU: 8
; AccumOffset: 8
; Occupancy: 8
; WaveLimiterHint : 0
; COMPUTE_PGM_RSRC2:SCRATCH_EN: 0
; COMPUTE_PGM_RSRC2:USER_SGPR: 6
; COMPUTE_PGM_RSRC2:TRAP_HANDLER: 0
; COMPUTE_PGM_RSRC2:TGID_X_EN: 1
; COMPUTE_PGM_RSRC2:TGID_Y_EN: 1
; COMPUTE_PGM_RSRC2:TGID_Z_EN: 1
; COMPUTE_PGM_RSRC2:TIDIG_COMP_CNT: 0
; COMPUTE_PGM_RSRC3_GFX90A:ACCUM_OFFSET: 1
; COMPUTE_PGM_RSRC3_GFX90A:TG_SPLIT: 0
	.section	.text._ZN2at6native12_GLOBAL__N_130reflection_pad1d_backward_flatIN3c107complexIfEEEEvPT_PKS6_llll,"axG",@progbits,_ZN2at6native12_GLOBAL__N_130reflection_pad1d_backward_flatIN3c107complexIfEEEEvPT_PKS6_llll,comdat
	.globl	_ZN2at6native12_GLOBAL__N_130reflection_pad1d_backward_flatIN3c107complexIfEEEEvPT_PKS6_llll ; -- Begin function _ZN2at6native12_GLOBAL__N_130reflection_pad1d_backward_flatIN3c107complexIfEEEEvPT_PKS6_llll
	.p2align	8
	.type	_ZN2at6native12_GLOBAL__N_130reflection_pad1d_backward_flatIN3c107complexIfEEEEvPT_PKS6_llll,@function
_ZN2at6native12_GLOBAL__N_130reflection_pad1d_backward_flatIN3c107complexIfEEEEvPT_PKS6_llll: ; @_ZN2at6native12_GLOBAL__N_130reflection_pad1d_backward_flatIN3c107complexIfEEEEvPT_PKS6_llll
; %bb.0:
	s_load_dword s2, s[4:5], 0x3c
	s_load_dwordx8 s[8:15], s[4:5], 0x10
	s_add_u32 s0, s4, 48
	v_mov_b32_e32 v2, 0
	s_addc_u32 s1, s5, 0
	s_waitcnt lgkmcnt(0)
	s_and_b32 s2, s2, 0xffff
	s_mul_i32 s3, s14, s13
	s_mul_hi_u32 s7, s14, s12
	v_mov_b32_e32 v1, v2
	s_add_i32 s3, s7, s3
	s_mul_i32 s7, s15, s12
	v_mov_b32_e32 v3, s6
	s_add_i32 s15, s3, s7
	s_mul_i32 s14, s14, s12
	v_mad_u64_u32 v[0:1], s[6:7], s2, v3, v[0:1]
	v_cmp_gt_i64_e32 vcc, s[14:15], v[0:1]
	s_and_saveexec_b64 s[6:7], vcc
	s_cbranch_execz .LBB52_17
; %bb.1:
	v_cvt_f32_u32_e32 v3, s12
	s_load_dword s3, s[0:1], 0x0
	s_load_dwordx4 s[16:19], s[4:5], 0x0
	s_lshl_b64 s[0:1], s[8:9], 1
	s_add_u32 s4, s0, -2
	v_rcp_iflag_f32_e32 v3, v3
	s_addc_u32 s5, s1, -1
	s_waitcnt lgkmcnt(0)
	s_mul_hi_u32 s28, s2, s3
	s_mul_i32 s29, s2, s3
	v_mul_f32_e32 v3, 0x4f7ffffe, v3
	v_cvt_u32_f32_e32 v10, v3
	s_mov_b64 s[6:7], 0
	s_ashr_i32 s20, s13, 31
	v_cmp_gt_i64_e64 s[22:23], s[4:5], 0
.LBB52_2:                               ; =>This Loop Header: Depth=1
                                        ;     Child Loop BB52_13 Depth 2
                                        ;     Child Loop BB52_15 Depth 2
	v_or_b32_e32 v3, s13, v1
	v_cmp_ne_u64_e32 vcc, 0, v[2:3]
                                        ; implicit-def: $vgpr4_vgpr5
	s_and_saveexec_b64 s[0:1], vcc
	s_xor_b64 s[2:3], exec, s[0:1]
	s_cbranch_execnz .LBB52_5
; %bb.3:                                ;   in Loop: Header=BB52_2 Depth=1
	s_andn2_saveexec_b64 s[0:1], s[2:3]
	s_cbranch_execnz .LBB52_6
.LBB52_4:                               ;   in Loop: Header=BB52_2 Depth=1
	s_or_b64 exec, exec, s[0:1]
	s_andn2_b64 vcc, exec, s[22:23]
	v_pk_mov_b32 v[6:7], 0, 0
	s_cbranch_vccz .LBB52_7
	s_branch .LBB52_12
.LBB52_5:                               ;   in Loop: Header=BB52_2 Depth=1
	s_add_u32 s0, s12, s20
	s_mov_b32 s21, s20
	s_addc_u32 s1, s13, s20
	s_xor_b64 s[24:25], s[0:1], s[20:21]
	v_cvt_f32_u32_e32 v3, s24
	v_cvt_f32_u32_e32 v4, s25
	s_sub_u32 s0, 0, s24
	s_subb_u32 s1, 0, s25
	v_mac_f32_e32 v3, 0x4f800000, v4
	v_rcp_f32_e32 v3, v3
	v_mul_f32_e32 v3, 0x5f7ffffc, v3
	v_mul_f32_e32 v4, 0x2f800000, v3
	v_trunc_f32_e32 v4, v4
	v_mac_f32_e32 v3, 0xcf800000, v4
	v_cvt_u32_f32_e32 v4, v4
	v_cvt_u32_f32_e32 v3, v3
	v_mul_lo_u32 v5, s0, v4
	v_mul_hi_u32 v7, s0, v3
	v_mul_lo_u32 v6, s1, v3
	v_add_u32_e32 v5, v7, v5
	v_mul_lo_u32 v8, s0, v3
	v_add_u32_e32 v5, v5, v6
	v_mul_lo_u32 v7, v3, v5
	v_mul_hi_u32 v9, v3, v8
	v_mul_hi_u32 v6, v3, v5
	v_add_co_u32_e32 v7, vcc, v9, v7
	v_addc_co_u32_e32 v6, vcc, 0, v6, vcc
	v_mul_hi_u32 v11, v4, v8
	v_mul_lo_u32 v8, v4, v8
	v_add_co_u32_e32 v7, vcc, v7, v8
	v_mul_hi_u32 v9, v4, v5
	v_addc_co_u32_e32 v6, vcc, v6, v11, vcc
	v_addc_co_u32_e32 v7, vcc, 0, v9, vcc
	v_mul_lo_u32 v5, v4, v5
	v_add_co_u32_e32 v5, vcc, v6, v5
	v_addc_co_u32_e32 v6, vcc, 0, v7, vcc
	v_add_co_u32_e32 v3, vcc, v3, v5
	v_addc_co_u32_e32 v4, vcc, v4, v6, vcc
	v_mul_lo_u32 v5, s0, v4
	v_mul_hi_u32 v6, s0, v3
	v_add_u32_e32 v5, v6, v5
	v_mul_lo_u32 v6, s1, v3
	v_add_u32_e32 v5, v5, v6
	v_mul_lo_u32 v7, s0, v3
	v_mul_hi_u32 v8, v4, v7
	v_mul_lo_u32 v9, v4, v7
	v_mul_lo_u32 v12, v3, v5
	v_mul_hi_u32 v7, v3, v7
	v_mul_hi_u32 v11, v3, v5
	v_add_co_u32_e32 v7, vcc, v7, v12
	v_addc_co_u32_e32 v11, vcc, 0, v11, vcc
	v_add_co_u32_e32 v7, vcc, v7, v9
	v_mul_hi_u32 v6, v4, v5
	v_addc_co_u32_e32 v7, vcc, v11, v8, vcc
	v_addc_co_u32_e32 v6, vcc, 0, v6, vcc
	v_mul_lo_u32 v5, v4, v5
	v_add_co_u32_e32 v5, vcc, v7, v5
	v_addc_co_u32_e32 v6, vcc, 0, v6, vcc
	v_add_co_u32_e32 v3, vcc, v3, v5
	v_addc_co_u32_e32 v6, vcc, v4, v6, vcc
	v_ashrrev_i32_e32 v8, 31, v1
	v_add_co_u32_e32 v4, vcc, v0, v8
	v_addc_co_u32_e32 v5, vcc, v1, v8, vcc
	v_xor_b32_e32 v11, v4, v8
	v_xor_b32_e32 v9, v5, v8
	v_mad_u64_u32 v[4:5], s[0:1], v11, v6, 0
	v_mul_hi_u32 v7, v11, v3
	v_add_co_u32_e32 v12, vcc, v7, v4
	v_addc_co_u32_e32 v13, vcc, 0, v5, vcc
	v_mad_u64_u32 v[4:5], s[0:1], v9, v6, 0
	v_mad_u64_u32 v[6:7], s[0:1], v9, v3, 0
	v_add_co_u32_e32 v3, vcc, v12, v6
	v_addc_co_u32_e32 v3, vcc, v13, v7, vcc
	v_addc_co_u32_e32 v5, vcc, 0, v5, vcc
	v_add_co_u32_e32 v3, vcc, v3, v4
	v_addc_co_u32_e32 v6, vcc, 0, v5, vcc
	v_mul_lo_u32 v7, s25, v3
	v_mul_lo_u32 v12, s24, v6
	v_mad_u64_u32 v[4:5], s[0:1], s24, v3, 0
	v_add3_u32 v5, v5, v12, v7
	v_sub_u32_e32 v7, v9, v5
	v_mov_b32_e32 v12, s25
	v_sub_co_u32_e32 v4, vcc, v11, v4
	v_subb_co_u32_e64 v7, s[0:1], v7, v12, vcc
	v_subrev_co_u32_e64 v11, s[0:1], s24, v4
	v_subbrev_co_u32_e64 v7, s[0:1], 0, v7, s[0:1]
	v_cmp_le_u32_e64 s[0:1], s25, v7
	v_cndmask_b32_e64 v12, 0, -1, s[0:1]
	v_cmp_le_u32_e64 s[0:1], s24, v11
	v_cndmask_b32_e64 v11, 0, -1, s[0:1]
	v_cmp_eq_u32_e64 s[0:1], s25, v7
	v_cndmask_b32_e64 v7, v12, v11, s[0:1]
	v_add_co_u32_e64 v11, s[0:1], 2, v3
	v_subb_co_u32_e32 v5, vcc, v9, v5, vcc
	v_addc_co_u32_e64 v12, s[0:1], 0, v6, s[0:1]
	v_cmp_le_u32_e32 vcc, s25, v5
	v_add_co_u32_e64 v13, s[0:1], 1, v3
	v_cndmask_b32_e64 v9, 0, -1, vcc
	v_cmp_le_u32_e32 vcc, s24, v4
	v_addc_co_u32_e64 v14, s[0:1], 0, v6, s[0:1]
	v_cndmask_b32_e64 v4, 0, -1, vcc
	v_cmp_eq_u32_e32 vcc, s25, v5
	v_cmp_ne_u32_e64 s[0:1], 0, v7
	v_cndmask_b32_e32 v4, v9, v4, vcc
	v_cmp_ne_u32_e32 vcc, 0, v4
	v_cndmask_b32_e64 v5, v13, v11, s[0:1]
	v_cndmask_b32_e64 v7, v14, v12, s[0:1]
	v_cndmask_b32_e32 v3, v3, v5, vcc
	v_xor_b32_e32 v5, s20, v8
	v_cndmask_b32_e32 v4, v6, v7, vcc
	v_xor_b32_e32 v3, v3, v5
	v_xor_b32_e32 v6, v4, v5
	v_sub_co_u32_e32 v4, vcc, v3, v5
	v_subb_co_u32_e32 v5, vcc, v6, v5, vcc
	s_andn2_saveexec_b64 s[0:1], s[2:3]
	s_cbranch_execz .LBB52_4
.LBB52_6:                               ;   in Loop: Header=BB52_2 Depth=1
	s_sub_i32 s2, 0, s12
	v_mul_lo_u32 v3, s2, v10
	v_mul_hi_u32 v3, v10, v3
	v_add_u32_e32 v3, v10, v3
	v_mul_hi_u32 v3, v0, v3
	v_mul_lo_u32 v4, v3, s12
	v_sub_u32_e32 v4, v0, v4
	v_subrev_u32_e32 v5, s12, v4
	v_cmp_le_u32_e32 vcc, s12, v4
	v_cndmask_b32_e32 v4, v4, v5, vcc
	v_add_u32_e32 v5, 1, v3
	v_cndmask_b32_e32 v3, v3, v5, vcc
	v_add_u32_e32 v5, 1, v3
	v_cmp_le_u32_e32 vcc, s12, v4
	v_cndmask_b32_e32 v4, v3, v5, vcc
	v_mov_b32_e32 v5, v2
	s_or_b64 exec, exec, s[0:1]
	s_andn2_b64 vcc, exec, s[22:23]
	v_pk_mov_b32 v[6:7], 0, 0
	s_cbranch_vccnz .LBB52_12
.LBB52_7:                               ;   in Loop: Header=BB52_2 Depth=1
	v_pk_mov_b32 v[6:7], s[10:11], s[10:11] op_sel:[0,1]
	v_mad_u64_u32 v[6:7], s[0:1], v4, s12, v[6:7]
	v_mul_lo_u32 v3, v4, s13
	v_mul_lo_u32 v8, v5, s12
	v_add3_u32 v3, v8, v7, v3
	v_sub_co_u32_e32 v8, vcc, v0, v6
	v_subb_co_u32_e32 v9, vcc, v1, v3, vcc
	v_or_b32_e32 v3, s5, v9
	v_cmp_ne_u64_e32 vcc, 0, v[2:3]
                                        ; implicit-def: $vgpr6_vgpr7
	s_and_saveexec_b64 s[0:1], vcc
	s_xor_b64 s[24:25], exec, s[0:1]
	s_cbranch_execz .LBB52_9
; %bb.8:                                ;   in Loop: Header=BB52_2 Depth=1
	s_ashr_i32 s0, s5, 31
	s_add_u32 s2, s4, s0
	s_mov_b32 s1, s0
	s_addc_u32 s3, s5, s0
	s_xor_b64 s[26:27], s[2:3], s[0:1]
	v_cvt_f32_u32_e32 v3, s26
	v_cvt_f32_u32_e32 v6, s27
	s_sub_u32 s0, 0, s26
	s_subb_u32 s1, 0, s27
	v_mac_f32_e32 v3, 0x4f800000, v6
	v_rcp_f32_e32 v3, v3
	v_mul_f32_e32 v3, 0x5f7ffffc, v3
	v_mul_f32_e32 v6, 0x2f800000, v3
	v_trunc_f32_e32 v6, v6
	v_mac_f32_e32 v3, 0xcf800000, v6
	v_cvt_u32_f32_e32 v6, v6
	v_cvt_u32_f32_e32 v3, v3
	v_mul_lo_u32 v7, s0, v6
	v_mul_hi_u32 v12, s0, v3
	v_mul_lo_u32 v11, s1, v3
	v_add_u32_e32 v7, v12, v7
	v_mul_lo_u32 v13, s0, v3
	v_add_u32_e32 v7, v7, v11
	v_mul_lo_u32 v12, v3, v7
	v_mul_hi_u32 v14, v3, v13
	v_mul_hi_u32 v11, v3, v7
	v_add_co_u32_e32 v12, vcc, v14, v12
	v_addc_co_u32_e32 v11, vcc, 0, v11, vcc
	v_mul_hi_u32 v15, v6, v13
	v_mul_lo_u32 v13, v6, v13
	v_add_co_u32_e32 v12, vcc, v12, v13
	v_mul_hi_u32 v14, v6, v7
	v_addc_co_u32_e32 v11, vcc, v11, v15, vcc
	v_addc_co_u32_e32 v12, vcc, 0, v14, vcc
	v_mul_lo_u32 v7, v6, v7
	v_add_co_u32_e32 v7, vcc, v11, v7
	v_addc_co_u32_e32 v11, vcc, 0, v12, vcc
	v_add_co_u32_e32 v3, vcc, v3, v7
	v_addc_co_u32_e32 v6, vcc, v6, v11, vcc
	v_mul_lo_u32 v7, s0, v6
	v_mul_hi_u32 v11, s0, v3
	v_add_u32_e32 v7, v11, v7
	v_mul_lo_u32 v11, s1, v3
	v_add_u32_e32 v7, v7, v11
	v_mul_lo_u32 v12, s0, v3
	v_mul_hi_u32 v13, v6, v12
	v_mul_lo_u32 v14, v6, v12
	v_mul_lo_u32 v16, v3, v7
	v_mul_hi_u32 v12, v3, v12
	v_mul_hi_u32 v15, v3, v7
	v_add_co_u32_e32 v12, vcc, v12, v16
	v_addc_co_u32_e32 v15, vcc, 0, v15, vcc
	v_add_co_u32_e32 v12, vcc, v12, v14
	v_mul_hi_u32 v11, v6, v7
	v_addc_co_u32_e32 v12, vcc, v15, v13, vcc
	v_addc_co_u32_e32 v11, vcc, 0, v11, vcc
	v_mul_lo_u32 v7, v6, v7
	v_add_co_u32_e32 v7, vcc, v12, v7
	v_addc_co_u32_e32 v11, vcc, 0, v11, vcc
	v_add_co_u32_e32 v3, vcc, v3, v7
	v_addc_co_u32_e32 v11, vcc, v6, v11, vcc
	v_ashrrev_i32_e32 v12, 31, v9
	v_add_co_u32_e32 v6, vcc, v8, v12
	v_addc_co_u32_e32 v7, vcc, v9, v12, vcc
	v_xor_b32_e32 v14, v6, v12
	v_xor_b32_e32 v13, v7, v12
	v_mad_u64_u32 v[6:7], s[0:1], v14, v11, 0
	v_mul_hi_u32 v8, v14, v3
	v_add_co_u32_e32 v15, vcc, v8, v6
	v_addc_co_u32_e32 v16, vcc, 0, v7, vcc
	v_mad_u64_u32 v[8:9], s[0:1], v13, v3, 0
	v_add_co_u32_e32 v3, vcc, v15, v8
	v_mad_u64_u32 v[6:7], s[0:1], v13, v11, 0
	v_addc_co_u32_e32 v3, vcc, v16, v9, vcc
	v_addc_co_u32_e32 v7, vcc, 0, v7, vcc
	v_add_co_u32_e32 v3, vcc, v3, v6
	v_addc_co_u32_e32 v6, vcc, 0, v7, vcc
	v_mul_lo_u32 v8, s27, v3
	v_mul_lo_u32 v9, s26, v6
	v_mad_u64_u32 v[6:7], s[0:1], s26, v3, 0
	v_add3_u32 v3, v7, v9, v8
	v_sub_u32_e32 v7, v13, v3
	v_mov_b32_e32 v8, s27
	v_sub_co_u32_e32 v6, vcc, v14, v6
	v_subb_co_u32_e64 v7, s[0:1], v7, v8, vcc
	v_subrev_co_u32_e64 v9, s[0:1], s26, v6
	v_subbrev_co_u32_e64 v11, s[2:3], 0, v7, s[0:1]
	v_cmp_le_u32_e64 s[2:3], s27, v11
	v_cndmask_b32_e64 v14, 0, -1, s[2:3]
	v_cmp_le_u32_e64 s[2:3], s26, v9
	v_subb_co_u32_e64 v7, s[0:1], v7, v8, s[0:1]
	v_cndmask_b32_e64 v15, 0, -1, s[2:3]
	v_cmp_eq_u32_e64 s[2:3], s27, v11
	v_subrev_co_u32_e64 v8, s[0:1], s26, v9
	v_cndmask_b32_e64 v14, v14, v15, s[2:3]
	v_subbrev_co_u32_e64 v7, s[0:1], 0, v7, s[0:1]
	v_subb_co_u32_e32 v3, vcc, v13, v3, vcc
	v_cmp_ne_u32_e64 s[0:1], 0, v14
	v_cmp_le_u32_e32 vcc, s27, v3
	v_cndmask_b32_e64 v7, v11, v7, s[0:1]
	v_cndmask_b32_e64 v11, 0, -1, vcc
	v_cmp_le_u32_e32 vcc, s26, v6
	v_cndmask_b32_e64 v13, 0, -1, vcc
	v_cmp_eq_u32_e32 vcc, s27, v3
	v_cndmask_b32_e32 v11, v11, v13, vcc
	v_cmp_ne_u32_e32 vcc, 0, v11
	v_cndmask_b32_e32 v3, v3, v7, vcc
	v_cndmask_b32_e64 v7, v9, v8, s[0:1]
	v_cndmask_b32_e32 v6, v6, v7, vcc
	v_xor_b32_e32 v6, v6, v12
	v_xor_b32_e32 v3, v3, v12
	v_sub_co_u32_e32 v6, vcc, v6, v12
	v_subb_co_u32_e32 v7, vcc, v3, v12, vcc
                                        ; implicit-def: $vgpr8
.LBB52_9:                               ;   in Loop: Header=BB52_2 Depth=1
	s_andn2_saveexec_b64 s[0:1], s[24:25]
	s_cbranch_execz .LBB52_11
; %bb.10:                               ;   in Loop: Header=BB52_2 Depth=1
	v_cvt_f32_u32_e32 v3, s4
	s_sub_i32 s2, 0, s4
	v_mov_b32_e32 v7, v2
	v_rcp_iflag_f32_e32 v3, v3
	v_mul_f32_e32 v3, 0x4f7ffffe, v3
	v_cvt_u32_f32_e32 v3, v3
	v_mul_lo_u32 v6, s2, v3
	v_mul_hi_u32 v6, v3, v6
	v_add_u32_e32 v3, v3, v6
	v_mul_hi_u32 v3, v8, v3
	v_mul_lo_u32 v3, v3, s4
	v_sub_u32_e32 v3, v8, v3
	v_subrev_u32_e32 v6, s4, v3
	v_cmp_le_u32_e32 vcc, s4, v3
	v_cndmask_b32_e32 v3, v3, v6, vcc
	v_subrev_u32_e32 v6, s4, v3
	v_cmp_le_u32_e32 vcc, s4, v3
	v_cndmask_b32_e32 v6, v3, v6, vcc
.LBB52_11:                              ;   in Loop: Header=BB52_2 Depth=1
	s_or_b64 exec, exec, s[0:1]
	v_ashrrev_i32_e32 v3, 31, v7
	v_and_b32_e32 v8, s5, v3
	v_and_b32_e32 v3, s4, v3
	v_add_co_u32_e32 v6, vcc, v3, v6
	v_addc_co_u32_e32 v7, vcc, v8, v7, vcc
	v_mov_b32_e32 v3, s5
	v_sub_co_u32_e32 v8, vcc, s4, v6
	v_subb_co_u32_e32 v3, vcc, v3, v7, vcc
	v_cmp_gt_i64_e32 vcc, s[8:9], v[6:7]
	v_cndmask_b32_e32 v7, v3, v7, vcc
	v_cndmask_b32_e32 v6, v8, v6, vcc
.LBB52_12:                              ;   in Loop: Header=BB52_2 Depth=1
	v_mul_lo_u32 v3, v5, s8
	v_mul_lo_u32 v8, v4, s9
	v_mad_u64_u32 v[4:5], s[0:1], v4, s8, 0
	v_add3_u32 v5, v5, v8, v3
	v_lshlrev_b64 v[4:5], 3, v[4:5]
	v_mov_b32_e32 v3, s17
	v_add_co_u32_e32 v8, vcc, s16, v4
	v_addc_co_u32_e32 v3, vcc, v3, v5, vcc
	v_lshlrev_b64 v[4:5], 3, v[6:7]
	v_add_co_u32_e32 v4, vcc, v8, v4
	v_addc_co_u32_e32 v5, vcc, v3, v5, vcc
	v_lshlrev_b64 v[6:7], 3, v[0:1]
	v_mov_b32_e32 v3, s19
	v_add_co_u32_e32 v12, vcc, s18, v6
	v_addc_co_u32_e32 v13, vcc, v3, v7, vcc
	global_load_dwordx2 v[6:7], v[12:13], off
	global_load_dword v9, v[4:5], off
	s_mov_b64 s[0:1], 0
.LBB52_13:                              ;   Parent Loop BB52_2 Depth=1
                                        ; =>  This Inner Loop Header: Depth=2
	s_waitcnt vmcnt(0)
	v_add_f32_e32 v8, v9, v6
	global_atomic_cmpswap v3, v[4:5], v[8:9], off glc
	s_waitcnt vmcnt(0)
	v_cmp_eq_u32_e32 vcc, v3, v9
	s_or_b64 s[0:1], vcc, s[0:1]
	v_mov_b32_e32 v9, v3
	s_andn2_b64 exec, exec, s[0:1]
	s_cbranch_execnz .LBB52_13
; %bb.14:                               ;   in Loop: Header=BB52_2 Depth=1
	s_or_b64 exec, exec, s[0:1]
	global_load_dword v9, v[4:5], off offset:4
	s_mov_b64 s[0:1], 0
.LBB52_15:                              ;   Parent Loop BB52_2 Depth=1
                                        ; =>  This Inner Loop Header: Depth=2
	s_waitcnt vmcnt(0)
	v_add_f32_e32 v8, v9, v7
	global_atomic_cmpswap v3, v[4:5], v[8:9], off offset:4 glc
	s_waitcnt vmcnt(0)
	v_cmp_eq_u32_e32 vcc, v3, v9
	s_or_b64 s[0:1], vcc, s[0:1]
	v_mov_b32_e32 v9, v3
	s_andn2_b64 exec, exec, s[0:1]
	s_cbranch_execnz .LBB52_15
; %bb.16:                               ;   in Loop: Header=BB52_2 Depth=1
	s_or_b64 exec, exec, s[0:1]
	v_mov_b32_e32 v3, s28
	v_add_co_u32_e32 v0, vcc, s29, v0
	v_addc_co_u32_e32 v1, vcc, v1, v3, vcc
	v_cmp_le_i64_e32 vcc, s[14:15], v[0:1]
	s_or_b64 s[6:7], vcc, s[6:7]
	s_andn2_b64 exec, exec, s[6:7]
	s_cbranch_execnz .LBB52_2
.LBB52_17:
	s_endpgm
	.section	.rodata,"a",@progbits
	.p2align	6, 0x0
	.amdhsa_kernel _ZN2at6native12_GLOBAL__N_130reflection_pad1d_backward_flatIN3c107complexIfEEEEvPT_PKS6_llll
		.amdhsa_group_segment_fixed_size 0
		.amdhsa_private_segment_fixed_size 0
		.amdhsa_kernarg_size 304
		.amdhsa_user_sgpr_count 6
		.amdhsa_user_sgpr_private_segment_buffer 1
		.amdhsa_user_sgpr_dispatch_ptr 0
		.amdhsa_user_sgpr_queue_ptr 0
		.amdhsa_user_sgpr_kernarg_segment_ptr 1
		.amdhsa_user_sgpr_dispatch_id 0
		.amdhsa_user_sgpr_flat_scratch_init 0
		.amdhsa_user_sgpr_kernarg_preload_length 0
		.amdhsa_user_sgpr_kernarg_preload_offset 0
		.amdhsa_user_sgpr_private_segment_size 0
		.amdhsa_uses_dynamic_stack 0
		.amdhsa_system_sgpr_private_segment_wavefront_offset 0
		.amdhsa_system_sgpr_workgroup_id_x 1
		.amdhsa_system_sgpr_workgroup_id_y 0
		.amdhsa_system_sgpr_workgroup_id_z 0
		.amdhsa_system_sgpr_workgroup_info 0
		.amdhsa_system_vgpr_workitem_id 0
		.amdhsa_next_free_vgpr 17
		.amdhsa_next_free_sgpr 30
		.amdhsa_accum_offset 20
		.amdhsa_reserve_vcc 1
		.amdhsa_reserve_flat_scratch 0
		.amdhsa_float_round_mode_32 0
		.amdhsa_float_round_mode_16_64 0
		.amdhsa_float_denorm_mode_32 3
		.amdhsa_float_denorm_mode_16_64 3
		.amdhsa_dx10_clamp 1
		.amdhsa_ieee_mode 1
		.amdhsa_fp16_overflow 0
		.amdhsa_tg_split 0
		.amdhsa_exception_fp_ieee_invalid_op 0
		.amdhsa_exception_fp_denorm_src 0
		.amdhsa_exception_fp_ieee_div_zero 0
		.amdhsa_exception_fp_ieee_overflow 0
		.amdhsa_exception_fp_ieee_underflow 0
		.amdhsa_exception_fp_ieee_inexact 0
		.amdhsa_exception_int_div_zero 0
	.end_amdhsa_kernel
	.section	.text._ZN2at6native12_GLOBAL__N_130reflection_pad1d_backward_flatIN3c107complexIfEEEEvPT_PKS6_llll,"axG",@progbits,_ZN2at6native12_GLOBAL__N_130reflection_pad1d_backward_flatIN3c107complexIfEEEEvPT_PKS6_llll,comdat
.Lfunc_end52:
	.size	_ZN2at6native12_GLOBAL__N_130reflection_pad1d_backward_flatIN3c107complexIfEEEEvPT_PKS6_llll, .Lfunc_end52-_ZN2at6native12_GLOBAL__N_130reflection_pad1d_backward_flatIN3c107complexIfEEEEvPT_PKS6_llll
                                        ; -- End function
	.section	.AMDGPU.csdata,"",@progbits
; Kernel info:
; codeLenInByte = 2104
; NumSgprs: 34
; NumVgprs: 17
; NumAgprs: 0
; TotalNumVgprs: 17
; ScratchSize: 0
; MemoryBound: 0
; FloatMode: 240
; IeeeMode: 1
; LDSByteSize: 0 bytes/workgroup (compile time only)
; SGPRBlocks: 4
; VGPRBlocks: 2
; NumSGPRsForWavesPerEU: 34
; NumVGPRsForWavesPerEU: 17
; AccumOffset: 20
; Occupancy: 8
; WaveLimiterHint : 0
; COMPUTE_PGM_RSRC2:SCRATCH_EN: 0
; COMPUTE_PGM_RSRC2:USER_SGPR: 6
; COMPUTE_PGM_RSRC2:TRAP_HANDLER: 0
; COMPUTE_PGM_RSRC2:TGID_X_EN: 1
; COMPUTE_PGM_RSRC2:TGID_Y_EN: 0
; COMPUTE_PGM_RSRC2:TGID_Z_EN: 0
; COMPUTE_PGM_RSRC2:TIDIG_COMP_CNT: 0
; COMPUTE_PGM_RSRC3_GFX90A:ACCUM_OFFSET: 4
; COMPUTE_PGM_RSRC3_GFX90A:TG_SPLIT: 0
	.section	.text._ZN2at6native12_GLOBAL__N_136reflection_pad1d_backward_out_kernelIN3c104HalfEEEvPT_PKS5_lll,"axG",@progbits,_ZN2at6native12_GLOBAL__N_136reflection_pad1d_backward_out_kernelIN3c104HalfEEEvPT_PKS5_lll,comdat
	.globl	_ZN2at6native12_GLOBAL__N_136reflection_pad1d_backward_out_kernelIN3c104HalfEEEvPT_PKS5_lll ; -- Begin function _ZN2at6native12_GLOBAL__N_136reflection_pad1d_backward_out_kernelIN3c104HalfEEEvPT_PKS5_lll
	.p2align	8
	.type	_ZN2at6native12_GLOBAL__N_136reflection_pad1d_backward_out_kernelIN3c104HalfEEEvPT_PKS5_lll,@function
_ZN2at6native12_GLOBAL__N_136reflection_pad1d_backward_out_kernelIN3c104HalfEEEvPT_PKS5_lll: ; @_ZN2at6native12_GLOBAL__N_136reflection_pad1d_backward_out_kernelIN3c104HalfEEEvPT_PKS5_lll
; %bb.0:
	s_load_dword s9, s[4:5], 0x34
	s_load_dwordx2 s[0:1], s[4:5], 0x20
	s_load_dwordx8 s[12:19], s[4:5], 0x0
	s_add_u32 s2, s4, 40
	s_addc_u32 s3, s5, 0
	s_waitcnt lgkmcnt(0)
	s_and_b32 s4, s9, 0xffff
	v_mov_b32_e32 v1, 0
	v_mov_b32_e32 v2, s6
	v_mad_u64_u32 v[2:3], s[4:5], s4, v2, v[0:1]
	s_add_u32 s4, s18, s16
	s_addc_u32 s5, s19, s17
	s_add_u32 s0, s4, s0
	s_addc_u32 s1, s5, s1
	v_cmp_gt_i64_e32 vcc, s[0:1], v[2:3]
	s_and_saveexec_b64 s[10:11], vcc
	s_cbranch_execz .LBB53_7
; %bb.1:
	s_load_dword s6, s[2:3], 0x4
	s_sub_u32 s2, 0, s18
	v_mov_b32_e32 v0, s19
	v_subrev_co_u32_e32 v4, vcc, s18, v2
	s_waitcnt lgkmcnt(0)
	s_mul_i32 s6, s6, s8
	s_subb_u32 s3, 0, s19
	s_add_i32 s8, s6, s7
	v_subb_co_u32_e32 v0, vcc, v3, v0, vcc
	s_mul_i32 s7, s8, s17
	s_mul_hi_u32 s9, s8, s16
	v_ashrrev_i32_e32 v5, 31, v0
	s_add_i32 s7, s9, s7
	s_mul_i32 s1, s1, s8
	s_mul_hi_u32 s9, s0, s8
	v_xor_b32_e32 v4, v4, v5
	s_mul_i32 s6, s8, s16
	s_add_i32 s1, s9, s1
	s_mul_i32 s0, s0, s8
	v_cmp_gt_i64_e64 s[8:9], s[2:3], 0
	v_xor_b32_e32 v0, v0, v5
	v_sub_co_u32_e32 v4, vcc, v4, v5
	s_and_b64 s[8:9], s[8:9], exec
	v_subb_co_u32_e32 v5, vcc, v0, v5, vcc
	s_cselect_b32 s8, s3, 0
	s_cselect_b32 s9, s2, 0
	v_cmp_gt_i64_e64 s[2:3], s[18:19], 0
	v_mov_b32_e32 v0, s5
	v_subrev_co_u32_e32 v6, vcc, s4, v2
	s_and_b64 s[2:3], s[2:3], exec
	v_subb_co_u32_e32 v0, vcc, v3, v0, vcc
	s_cselect_b32 s3, s19, 0
	s_cselect_b32 s2, s18, 0
	v_add_co_u32_e32 v6, vcc, 1, v6
	v_addc_co_u32_e32 v0, vcc, 0, v0, vcc
	s_not_b64 s[2:3], s[2:3]
	v_ashrrev_i32_e32 v7, 31, v0
	s_add_u32 s4, s4, s18
	v_xor_b32_e32 v6, v6, v7
	s_addc_u32 s5, s5, s19
	v_xor_b32_e32 v0, v0, v7
	v_sub_co_u32_e32 v6, vcc, v6, v7
	s_add_u32 s2, s4, s2
	v_subb_co_u32_e32 v0, vcc, v0, v7, vcc
	s_addc_u32 s3, s5, s3
	s_add_u32 s2, s2, s9
	v_add_co_u32_e32 v6, vcc, v2, v6
	s_addc_u32 s3, s3, s8
	v_addc_co_u32_e32 v0, vcc, v3, v0, vcc
	v_mov_b32_e32 v7, s3
	v_sub_co_u32_e32 v6, vcc, s2, v6
	v_subb_co_u32_e32 v7, vcc, v7, v0, vcc
	v_lshlrev_b64 v[6:7], 1, v[6:7]
	v_mov_b32_e32 v0, s13
	v_add_co_u32_e32 v6, vcc, s12, v6
	v_addc_co_u32_e32 v0, vcc, v0, v7, vcc
	v_lshlrev_b64 v[4:5], 1, v[4:5]
	v_add_co_u32_e32 v4, vcc, v6, v4
	v_addc_co_u32_e32 v0, vcc, v0, v5, vcc
	s_lshl_b64 s[2:3], s[6:7], 1
	s_lshl_b64 s[0:1], s[0:1], 1
	v_mov_b32_e32 v5, s3
	v_add_co_u32_e32 v7, vcc, s2, v4
	s_add_u32 s0, s14, s0
	v_addc_co_u32_e32 v5, vcc, v0, v5, vcc
	s_addc_u32 s1, s15, s1
	v_lshlrev_b64 v[2:3], 1, v[2:3]
	v_mov_b32_e32 v0, s1
	v_add_co_u32_e32 v2, vcc, s0, v2
	v_addc_co_u32_e32 v3, vcc, v0, v3, vcc
	v_and_b32_e32 v4, -3, v7
	global_load_ushort v6, v[2:3], off
	v_and_b32_e32 v0, 2, v7
	global_load_dword v3, v[4:5], off
	s_mov_b64 s[4:5], 0
	v_cmp_eq_u64_e32 vcc, 0, v[0:1]
	v_cmp_ne_u32_e64 s[0:1], 0, v0
	s_mov_b32 s6, 0xffff0000
	s_branch .LBB53_3
.LBB53_2:                               ;   in Loop: Header=BB53_3 Depth=1
	s_or_b64 exec, exec, s[2:3]
	global_atomic_cmpswap v0, v[4:5], v[2:3], off glc
	s_waitcnt vmcnt(0)
	v_cmp_eq_u32_e64 s[2:3], v3, v0
	s_or_b64 s[4:5], s[2:3], s[4:5]
	v_mov_b32_e32 v3, v0
	s_andn2_b64 exec, exec, s[4:5]
	s_cbranch_execz .LBB53_7
.LBB53_3:                               ; =>This Inner Loop Header: Depth=1
	s_waitcnt vmcnt(0)
	v_lshrrev_b32_e32 v0, 16, v3
	v_cndmask_b32_e32 v0, v0, v3, vcc
	v_add_f16_e32 v0, v6, v0
	s_and_saveexec_b64 s[2:3], s[0:1]
	s_xor_b64 s[2:3], exec, s[2:3]
; %bb.4:                                ;   in Loop: Header=BB53_3 Depth=1
	v_and_b32_e32 v1, 0xffff, v3
	v_lshl_or_b32 v2, v0, 16, v1
                                        ; implicit-def: $vgpr0
; %bb.5:                                ;   in Loop: Header=BB53_3 Depth=1
	s_andn2_saveexec_b64 s[2:3], s[2:3]
	s_cbranch_execz .LBB53_2
; %bb.6:                                ;   in Loop: Header=BB53_3 Depth=1
	v_and_or_b32 v2, v3, s6, v0
	s_branch .LBB53_2
.LBB53_7:
	s_endpgm
	.section	.rodata,"a",@progbits
	.p2align	6, 0x0
	.amdhsa_kernel _ZN2at6native12_GLOBAL__N_136reflection_pad1d_backward_out_kernelIN3c104HalfEEEvPT_PKS5_lll
		.amdhsa_group_segment_fixed_size 0
		.amdhsa_private_segment_fixed_size 0
		.amdhsa_kernarg_size 296
		.amdhsa_user_sgpr_count 6
		.amdhsa_user_sgpr_private_segment_buffer 1
		.amdhsa_user_sgpr_dispatch_ptr 0
		.amdhsa_user_sgpr_queue_ptr 0
		.amdhsa_user_sgpr_kernarg_segment_ptr 1
		.amdhsa_user_sgpr_dispatch_id 0
		.amdhsa_user_sgpr_flat_scratch_init 0
		.amdhsa_user_sgpr_kernarg_preload_length 0
		.amdhsa_user_sgpr_kernarg_preload_offset 0
		.amdhsa_user_sgpr_private_segment_size 0
		.amdhsa_uses_dynamic_stack 0
		.amdhsa_system_sgpr_private_segment_wavefront_offset 0
		.amdhsa_system_sgpr_workgroup_id_x 1
		.amdhsa_system_sgpr_workgroup_id_y 1
		.amdhsa_system_sgpr_workgroup_id_z 1
		.amdhsa_system_sgpr_workgroup_info 0
		.amdhsa_system_vgpr_workitem_id 0
		.amdhsa_next_free_vgpr 8
		.amdhsa_next_free_sgpr 20
		.amdhsa_accum_offset 8
		.amdhsa_reserve_vcc 1
		.amdhsa_reserve_flat_scratch 0
		.amdhsa_float_round_mode_32 0
		.amdhsa_float_round_mode_16_64 0
		.amdhsa_float_denorm_mode_32 3
		.amdhsa_float_denorm_mode_16_64 3
		.amdhsa_dx10_clamp 1
		.amdhsa_ieee_mode 1
		.amdhsa_fp16_overflow 0
		.amdhsa_tg_split 0
		.amdhsa_exception_fp_ieee_invalid_op 0
		.amdhsa_exception_fp_denorm_src 0
		.amdhsa_exception_fp_ieee_div_zero 0
		.amdhsa_exception_fp_ieee_overflow 0
		.amdhsa_exception_fp_ieee_underflow 0
		.amdhsa_exception_fp_ieee_inexact 0
		.amdhsa_exception_int_div_zero 0
	.end_amdhsa_kernel
	.section	.text._ZN2at6native12_GLOBAL__N_136reflection_pad1d_backward_out_kernelIN3c104HalfEEEvPT_PKS5_lll,"axG",@progbits,_ZN2at6native12_GLOBAL__N_136reflection_pad1d_backward_out_kernelIN3c104HalfEEEvPT_PKS5_lll,comdat
.Lfunc_end53:
	.size	_ZN2at6native12_GLOBAL__N_136reflection_pad1d_backward_out_kernelIN3c104HalfEEEvPT_PKS5_lll, .Lfunc_end53-_ZN2at6native12_GLOBAL__N_136reflection_pad1d_backward_out_kernelIN3c104HalfEEEvPT_PKS5_lll
                                        ; -- End function
	.section	.AMDGPU.csdata,"",@progbits
; Kernel info:
; codeLenInByte = 548
; NumSgprs: 24
; NumVgprs: 8
; NumAgprs: 0
; TotalNumVgprs: 8
; ScratchSize: 0
; MemoryBound: 0
; FloatMode: 240
; IeeeMode: 1
; LDSByteSize: 0 bytes/workgroup (compile time only)
; SGPRBlocks: 2
; VGPRBlocks: 0
; NumSGPRsForWavesPerEU: 24
; NumVGPRsForWavesPerEU: 8
; AccumOffset: 8
; Occupancy: 8
; WaveLimiterHint : 0
; COMPUTE_PGM_RSRC2:SCRATCH_EN: 0
; COMPUTE_PGM_RSRC2:USER_SGPR: 6
; COMPUTE_PGM_RSRC2:TRAP_HANDLER: 0
; COMPUTE_PGM_RSRC2:TGID_X_EN: 1
; COMPUTE_PGM_RSRC2:TGID_Y_EN: 1
; COMPUTE_PGM_RSRC2:TGID_Z_EN: 1
; COMPUTE_PGM_RSRC2:TIDIG_COMP_CNT: 0
; COMPUTE_PGM_RSRC3_GFX90A:ACCUM_OFFSET: 1
; COMPUTE_PGM_RSRC3_GFX90A:TG_SPLIT: 0
	.section	.text._ZN2at6native12_GLOBAL__N_130reflection_pad1d_backward_flatIN3c104HalfEEEvPT_PKS5_llll,"axG",@progbits,_ZN2at6native12_GLOBAL__N_130reflection_pad1d_backward_flatIN3c104HalfEEEvPT_PKS5_llll,comdat
	.globl	_ZN2at6native12_GLOBAL__N_130reflection_pad1d_backward_flatIN3c104HalfEEEvPT_PKS5_llll ; -- Begin function _ZN2at6native12_GLOBAL__N_130reflection_pad1d_backward_flatIN3c104HalfEEEvPT_PKS5_llll
	.p2align	8
	.type	_ZN2at6native12_GLOBAL__N_130reflection_pad1d_backward_flatIN3c104HalfEEEvPT_PKS5_llll,@function
_ZN2at6native12_GLOBAL__N_130reflection_pad1d_backward_flatIN3c104HalfEEEvPT_PKS5_llll: ; @_ZN2at6native12_GLOBAL__N_130reflection_pad1d_backward_flatIN3c104HalfEEEvPT_PKS5_llll
; %bb.0:
	s_load_dword s2, s[4:5], 0x3c
	s_load_dwordx8 s[8:15], s[4:5], 0x10
	s_add_u32 s0, s4, 48
	v_mov_b32_e32 v2, 0
	s_addc_u32 s1, s5, 0
	s_waitcnt lgkmcnt(0)
	s_and_b32 s2, s2, 0xffff
	s_mul_i32 s3, s14, s13
	s_mul_hi_u32 s7, s14, s12
	v_mov_b32_e32 v1, v2
	s_add_i32 s3, s7, s3
	s_mul_i32 s7, s15, s12
	v_mov_b32_e32 v3, s6
	s_add_i32 s15, s3, s7
	s_mul_i32 s14, s14, s12
	v_mad_u64_u32 v[0:1], s[6:7], s2, v3, v[0:1]
	v_cmp_gt_i64_e32 vcc, s[14:15], v[0:1]
	s_and_saveexec_b64 s[6:7], vcc
	s_cbranch_execz .LBB54_19
; %bb.1:
	v_cvt_f32_u32_e32 v3, s12
	s_load_dword s3, s[0:1], 0x0
	s_load_dwordx4 s[16:19], s[4:5], 0x0
	s_lshl_b64 s[0:1], s[8:9], 1
	s_add_u32 s4, s0, -2
	v_rcp_iflag_f32_e32 v3, v3
	s_addc_u32 s5, s1, -1
	s_waitcnt lgkmcnt(0)
	s_mul_hi_u32 s28, s2, s3
	s_mul_i32 s29, s2, s3
	v_mul_f32_e32 v3, 0x4f7ffffe, v3
	v_cvt_u32_f32_e32 v8, v3
	s_mov_b64 s[6:7], 0
	s_ashr_i32 s20, s13, 31
	s_mov_b32 s30, 0xffff0000
	v_cmp_gt_i64_e64 s[22:23], s[4:5], 0
	s_branch .LBB54_3
.LBB54_2:                               ;   in Loop: Header=BB54_3 Depth=1
	s_or_b64 exec, exec, s[24:25]
	v_mov_b32_e32 v3, s28
	v_add_co_u32_e32 v0, vcc, s29, v0
	v_addc_co_u32_e32 v1, vcc, v1, v3, vcc
	v_cmp_le_i64_e32 vcc, s[14:15], v[0:1]
	s_or_b64 s[6:7], vcc, s[6:7]
	s_andn2_b64 exec, exec, s[6:7]
	s_cbranch_execz .LBB54_19
.LBB54_3:                               ; =>This Loop Header: Depth=1
                                        ;     Child Loop BB54_15 Depth 2
	v_or_b32_e32 v3, s13, v1
	v_cmp_ne_u64_e32 vcc, 0, v[2:3]
                                        ; implicit-def: $vgpr4_vgpr5
	s_and_saveexec_b64 s[0:1], vcc
	s_xor_b64 s[2:3], exec, s[0:1]
	s_cbranch_execnz .LBB54_6
; %bb.4:                                ;   in Loop: Header=BB54_3 Depth=1
	s_andn2_saveexec_b64 s[0:1], s[2:3]
	s_cbranch_execnz .LBB54_7
.LBB54_5:                               ;   in Loop: Header=BB54_3 Depth=1
	s_or_b64 exec, exec, s[0:1]
	s_andn2_b64 vcc, exec, s[22:23]
	v_pk_mov_b32 v[6:7], 0, 0
	s_cbranch_vccz .LBB54_8
	s_branch .LBB54_13
.LBB54_6:                               ;   in Loop: Header=BB54_3 Depth=1
	s_add_u32 s0, s12, s20
	s_mov_b32 s21, s20
	s_addc_u32 s1, s13, s20
	s_xor_b64 s[24:25], s[0:1], s[20:21]
	v_cvt_f32_u32_e32 v3, s24
	v_cvt_f32_u32_e32 v4, s25
	s_sub_u32 s0, 0, s24
	s_subb_u32 s1, 0, s25
	v_mac_f32_e32 v3, 0x4f800000, v4
	v_rcp_f32_e32 v3, v3
	v_mul_f32_e32 v3, 0x5f7ffffc, v3
	v_mul_f32_e32 v4, 0x2f800000, v3
	v_trunc_f32_e32 v4, v4
	v_mac_f32_e32 v3, 0xcf800000, v4
	v_cvt_u32_f32_e32 v4, v4
	v_cvt_u32_f32_e32 v3, v3
	v_mul_lo_u32 v5, s0, v4
	v_mul_hi_u32 v7, s0, v3
	v_mul_lo_u32 v6, s1, v3
	v_add_u32_e32 v5, v7, v5
	v_mul_lo_u32 v9, s0, v3
	v_add_u32_e32 v5, v5, v6
	v_mul_lo_u32 v7, v3, v5
	v_mul_hi_u32 v10, v3, v9
	v_mul_hi_u32 v6, v3, v5
	v_add_co_u32_e32 v7, vcc, v10, v7
	v_addc_co_u32_e32 v6, vcc, 0, v6, vcc
	v_mul_hi_u32 v11, v4, v9
	v_mul_lo_u32 v9, v4, v9
	v_add_co_u32_e32 v7, vcc, v7, v9
	v_mul_hi_u32 v10, v4, v5
	v_addc_co_u32_e32 v6, vcc, v6, v11, vcc
	v_addc_co_u32_e32 v7, vcc, 0, v10, vcc
	v_mul_lo_u32 v5, v4, v5
	v_add_co_u32_e32 v5, vcc, v6, v5
	v_addc_co_u32_e32 v6, vcc, 0, v7, vcc
	v_add_co_u32_e32 v3, vcc, v3, v5
	v_addc_co_u32_e32 v4, vcc, v4, v6, vcc
	v_mul_lo_u32 v5, s0, v4
	v_mul_hi_u32 v6, s0, v3
	v_add_u32_e32 v5, v6, v5
	v_mul_lo_u32 v6, s1, v3
	v_add_u32_e32 v5, v5, v6
	v_mul_lo_u32 v7, s0, v3
	v_mul_hi_u32 v9, v4, v7
	v_mul_lo_u32 v10, v4, v7
	v_mul_lo_u32 v12, v3, v5
	v_mul_hi_u32 v7, v3, v7
	v_mul_hi_u32 v11, v3, v5
	v_add_co_u32_e32 v7, vcc, v7, v12
	v_addc_co_u32_e32 v11, vcc, 0, v11, vcc
	v_add_co_u32_e32 v7, vcc, v7, v10
	v_mul_hi_u32 v6, v4, v5
	v_addc_co_u32_e32 v7, vcc, v11, v9, vcc
	v_addc_co_u32_e32 v6, vcc, 0, v6, vcc
	v_mul_lo_u32 v5, v4, v5
	v_add_co_u32_e32 v5, vcc, v7, v5
	v_addc_co_u32_e32 v6, vcc, 0, v6, vcc
	v_add_co_u32_e32 v3, vcc, v3, v5
	v_addc_co_u32_e32 v6, vcc, v4, v6, vcc
	v_ashrrev_i32_e32 v9, 31, v1
	v_add_co_u32_e32 v4, vcc, v0, v9
	v_addc_co_u32_e32 v5, vcc, v1, v9, vcc
	v_xor_b32_e32 v11, v4, v9
	v_xor_b32_e32 v10, v5, v9
	v_mad_u64_u32 v[4:5], s[0:1], v11, v6, 0
	v_mul_hi_u32 v7, v11, v3
	v_add_co_u32_e32 v12, vcc, v7, v4
	v_addc_co_u32_e32 v13, vcc, 0, v5, vcc
	v_mad_u64_u32 v[4:5], s[0:1], v10, v6, 0
	v_mad_u64_u32 v[6:7], s[0:1], v10, v3, 0
	v_add_co_u32_e32 v3, vcc, v12, v6
	v_addc_co_u32_e32 v3, vcc, v13, v7, vcc
	v_addc_co_u32_e32 v5, vcc, 0, v5, vcc
	v_add_co_u32_e32 v3, vcc, v3, v4
	v_addc_co_u32_e32 v6, vcc, 0, v5, vcc
	v_mul_lo_u32 v7, s25, v3
	v_mul_lo_u32 v12, s24, v6
	v_mad_u64_u32 v[4:5], s[0:1], s24, v3, 0
	v_add3_u32 v5, v5, v12, v7
	v_sub_u32_e32 v7, v10, v5
	v_mov_b32_e32 v12, s25
	v_sub_co_u32_e32 v4, vcc, v11, v4
	v_subb_co_u32_e64 v7, s[0:1], v7, v12, vcc
	v_subrev_co_u32_e64 v11, s[0:1], s24, v4
	v_subbrev_co_u32_e64 v7, s[0:1], 0, v7, s[0:1]
	v_cmp_le_u32_e64 s[0:1], s25, v7
	v_cndmask_b32_e64 v12, 0, -1, s[0:1]
	v_cmp_le_u32_e64 s[0:1], s24, v11
	v_cndmask_b32_e64 v11, 0, -1, s[0:1]
	v_cmp_eq_u32_e64 s[0:1], s25, v7
	v_cndmask_b32_e64 v7, v12, v11, s[0:1]
	v_add_co_u32_e64 v11, s[0:1], 2, v3
	v_subb_co_u32_e32 v5, vcc, v10, v5, vcc
	v_addc_co_u32_e64 v12, s[0:1], 0, v6, s[0:1]
	v_cmp_le_u32_e32 vcc, s25, v5
	v_add_co_u32_e64 v13, s[0:1], 1, v3
	v_cndmask_b32_e64 v10, 0, -1, vcc
	v_cmp_le_u32_e32 vcc, s24, v4
	v_addc_co_u32_e64 v14, s[0:1], 0, v6, s[0:1]
	v_cndmask_b32_e64 v4, 0, -1, vcc
	v_cmp_eq_u32_e32 vcc, s25, v5
	v_cmp_ne_u32_e64 s[0:1], 0, v7
	v_cndmask_b32_e32 v4, v10, v4, vcc
	v_cmp_ne_u32_e32 vcc, 0, v4
	v_cndmask_b32_e64 v5, v13, v11, s[0:1]
	v_cndmask_b32_e64 v7, v14, v12, s[0:1]
	v_cndmask_b32_e32 v3, v3, v5, vcc
	v_xor_b32_e32 v5, s20, v9
	v_cndmask_b32_e32 v4, v6, v7, vcc
	v_xor_b32_e32 v3, v3, v5
	v_xor_b32_e32 v6, v4, v5
	v_sub_co_u32_e32 v4, vcc, v3, v5
	v_subb_co_u32_e32 v5, vcc, v6, v5, vcc
	s_andn2_saveexec_b64 s[0:1], s[2:3]
	s_cbranch_execz .LBB54_5
.LBB54_7:                               ;   in Loop: Header=BB54_3 Depth=1
	s_sub_i32 s2, 0, s12
	v_mul_lo_u32 v3, s2, v8
	v_mul_hi_u32 v3, v8, v3
	v_add_u32_e32 v3, v8, v3
	v_mul_hi_u32 v3, v0, v3
	v_mul_lo_u32 v4, v3, s12
	v_sub_u32_e32 v4, v0, v4
	v_subrev_u32_e32 v5, s12, v4
	v_cmp_le_u32_e32 vcc, s12, v4
	v_cndmask_b32_e32 v4, v4, v5, vcc
	v_add_u32_e32 v5, 1, v3
	v_cndmask_b32_e32 v3, v3, v5, vcc
	v_add_u32_e32 v5, 1, v3
	v_cmp_le_u32_e32 vcc, s12, v4
	v_cndmask_b32_e32 v4, v3, v5, vcc
	v_mov_b32_e32 v5, v2
	s_or_b64 exec, exec, s[0:1]
	s_andn2_b64 vcc, exec, s[22:23]
	v_pk_mov_b32 v[6:7], 0, 0
	s_cbranch_vccnz .LBB54_13
.LBB54_8:                               ;   in Loop: Header=BB54_3 Depth=1
	v_pk_mov_b32 v[6:7], s[10:11], s[10:11] op_sel:[0,1]
	v_mad_u64_u32 v[6:7], s[0:1], v4, s12, v[6:7]
	v_mul_lo_u32 v3, v4, s13
	v_mul_lo_u32 v9, v5, s12
	v_add3_u32 v3, v9, v7, v3
	v_sub_co_u32_e32 v9, vcc, v0, v6
	v_subb_co_u32_e32 v10, vcc, v1, v3, vcc
	v_or_b32_e32 v3, s5, v10
	v_cmp_ne_u64_e32 vcc, 0, v[2:3]
                                        ; implicit-def: $vgpr6_vgpr7
	s_and_saveexec_b64 s[0:1], vcc
	s_xor_b64 s[24:25], exec, s[0:1]
	s_cbranch_execz .LBB54_10
; %bb.9:                                ;   in Loop: Header=BB54_3 Depth=1
	s_ashr_i32 s0, s5, 31
	s_add_u32 s2, s4, s0
	s_mov_b32 s1, s0
	s_addc_u32 s3, s5, s0
	s_xor_b64 s[26:27], s[2:3], s[0:1]
	v_cvt_f32_u32_e32 v3, s26
	v_cvt_f32_u32_e32 v6, s27
	s_sub_u32 s0, 0, s26
	s_subb_u32 s1, 0, s27
	v_mac_f32_e32 v3, 0x4f800000, v6
	v_rcp_f32_e32 v3, v3
	v_mul_f32_e32 v3, 0x5f7ffffc, v3
	v_mul_f32_e32 v6, 0x2f800000, v3
	v_trunc_f32_e32 v6, v6
	v_mac_f32_e32 v3, 0xcf800000, v6
	v_cvt_u32_f32_e32 v6, v6
	v_cvt_u32_f32_e32 v3, v3
	v_mul_lo_u32 v7, s0, v6
	v_mul_hi_u32 v12, s0, v3
	v_mul_lo_u32 v11, s1, v3
	v_add_u32_e32 v7, v12, v7
	v_mul_lo_u32 v13, s0, v3
	v_add_u32_e32 v7, v7, v11
	v_mul_lo_u32 v12, v3, v7
	v_mul_hi_u32 v14, v3, v13
	v_mul_hi_u32 v11, v3, v7
	v_add_co_u32_e32 v12, vcc, v14, v12
	v_addc_co_u32_e32 v11, vcc, 0, v11, vcc
	v_mul_hi_u32 v15, v6, v13
	v_mul_lo_u32 v13, v6, v13
	v_add_co_u32_e32 v12, vcc, v12, v13
	v_mul_hi_u32 v14, v6, v7
	v_addc_co_u32_e32 v11, vcc, v11, v15, vcc
	v_addc_co_u32_e32 v12, vcc, 0, v14, vcc
	v_mul_lo_u32 v7, v6, v7
	v_add_co_u32_e32 v7, vcc, v11, v7
	v_addc_co_u32_e32 v11, vcc, 0, v12, vcc
	v_add_co_u32_e32 v3, vcc, v3, v7
	v_addc_co_u32_e32 v6, vcc, v6, v11, vcc
	v_mul_lo_u32 v7, s0, v6
	v_mul_hi_u32 v11, s0, v3
	v_add_u32_e32 v7, v11, v7
	v_mul_lo_u32 v11, s1, v3
	v_add_u32_e32 v7, v7, v11
	v_mul_lo_u32 v12, s0, v3
	v_mul_hi_u32 v13, v6, v12
	v_mul_lo_u32 v14, v6, v12
	v_mul_lo_u32 v16, v3, v7
	v_mul_hi_u32 v12, v3, v12
	v_mul_hi_u32 v15, v3, v7
	v_add_co_u32_e32 v12, vcc, v12, v16
	v_addc_co_u32_e32 v15, vcc, 0, v15, vcc
	v_add_co_u32_e32 v12, vcc, v12, v14
	v_mul_hi_u32 v11, v6, v7
	v_addc_co_u32_e32 v12, vcc, v15, v13, vcc
	v_addc_co_u32_e32 v11, vcc, 0, v11, vcc
	v_mul_lo_u32 v7, v6, v7
	v_add_co_u32_e32 v7, vcc, v12, v7
	v_addc_co_u32_e32 v11, vcc, 0, v11, vcc
	v_add_co_u32_e32 v3, vcc, v3, v7
	v_addc_co_u32_e32 v11, vcc, v6, v11, vcc
	v_ashrrev_i32_e32 v12, 31, v10
	v_add_co_u32_e32 v6, vcc, v9, v12
	v_addc_co_u32_e32 v7, vcc, v10, v12, vcc
	v_xor_b32_e32 v13, v6, v12
	v_xor_b32_e32 v9, v7, v12
	v_mad_u64_u32 v[6:7], s[0:1], v13, v11, 0
	v_mul_hi_u32 v10, v13, v3
	v_add_co_u32_e32 v14, vcc, v10, v6
	v_addc_co_u32_e32 v15, vcc, 0, v7, vcc
	v_mad_u64_u32 v[6:7], s[0:1], v9, v11, 0
	v_mad_u64_u32 v[10:11], s[0:1], v9, v3, 0
	v_add_co_u32_e32 v3, vcc, v14, v10
	v_addc_co_u32_e32 v3, vcc, v15, v11, vcc
	v_addc_co_u32_e32 v7, vcc, 0, v7, vcc
	v_add_co_u32_e32 v3, vcc, v3, v6
	v_addc_co_u32_e32 v6, vcc, 0, v7, vcc
	v_mul_lo_u32 v10, s27, v3
	v_mul_lo_u32 v11, s26, v6
	v_mad_u64_u32 v[6:7], s[0:1], s26, v3, 0
	v_add3_u32 v3, v7, v11, v10
	v_sub_u32_e32 v7, v9, v3
	v_mov_b32_e32 v10, s27
	v_sub_co_u32_e32 v6, vcc, v13, v6
	v_subb_co_u32_e64 v7, s[0:1], v7, v10, vcc
	v_subrev_co_u32_e64 v11, s[0:1], s26, v6
	v_subbrev_co_u32_e64 v13, s[2:3], 0, v7, s[0:1]
	v_cmp_le_u32_e64 s[2:3], s27, v13
	v_cndmask_b32_e64 v14, 0, -1, s[2:3]
	v_cmp_le_u32_e64 s[2:3], s26, v11
	v_subb_co_u32_e64 v7, s[0:1], v7, v10, s[0:1]
	v_cndmask_b32_e64 v15, 0, -1, s[2:3]
	v_cmp_eq_u32_e64 s[2:3], s27, v13
	v_subrev_co_u32_e64 v10, s[0:1], s26, v11
	v_subb_co_u32_e32 v3, vcc, v9, v3, vcc
	v_cndmask_b32_e64 v14, v14, v15, s[2:3]
	v_subbrev_co_u32_e64 v7, s[0:1], 0, v7, s[0:1]
	v_cmp_le_u32_e32 vcc, s27, v3
	v_cmp_ne_u32_e64 s[0:1], 0, v14
	v_cndmask_b32_e64 v9, 0, -1, vcc
	v_cmp_le_u32_e32 vcc, s26, v6
	v_cndmask_b32_e64 v7, v13, v7, s[0:1]
	v_cndmask_b32_e64 v13, 0, -1, vcc
	v_cmp_eq_u32_e32 vcc, s27, v3
	v_cndmask_b32_e32 v9, v9, v13, vcc
	v_cmp_ne_u32_e32 vcc, 0, v9
	v_cndmask_b32_e32 v3, v3, v7, vcc
	v_cndmask_b32_e64 v7, v11, v10, s[0:1]
	v_cndmask_b32_e32 v6, v6, v7, vcc
	v_xor_b32_e32 v6, v6, v12
	v_xor_b32_e32 v3, v3, v12
	v_sub_co_u32_e32 v6, vcc, v6, v12
	v_subb_co_u32_e32 v7, vcc, v3, v12, vcc
                                        ; implicit-def: $vgpr9
.LBB54_10:                              ;   in Loop: Header=BB54_3 Depth=1
	s_andn2_saveexec_b64 s[0:1], s[24:25]
	s_cbranch_execz .LBB54_12
; %bb.11:                               ;   in Loop: Header=BB54_3 Depth=1
	v_cvt_f32_u32_e32 v3, s4
	s_sub_i32 s2, 0, s4
	v_mov_b32_e32 v7, v2
	v_rcp_iflag_f32_e32 v3, v3
	v_mul_f32_e32 v3, 0x4f7ffffe, v3
	v_cvt_u32_f32_e32 v3, v3
	v_mul_lo_u32 v6, s2, v3
	v_mul_hi_u32 v6, v3, v6
	v_add_u32_e32 v3, v3, v6
	v_mul_hi_u32 v3, v9, v3
	v_mul_lo_u32 v3, v3, s4
	v_sub_u32_e32 v3, v9, v3
	v_subrev_u32_e32 v6, s4, v3
	v_cmp_le_u32_e32 vcc, s4, v3
	v_cndmask_b32_e32 v3, v3, v6, vcc
	v_subrev_u32_e32 v6, s4, v3
	v_cmp_le_u32_e32 vcc, s4, v3
	v_cndmask_b32_e32 v6, v3, v6, vcc
.LBB54_12:                              ;   in Loop: Header=BB54_3 Depth=1
	s_or_b64 exec, exec, s[0:1]
	v_ashrrev_i32_e32 v3, 31, v7
	v_and_b32_e32 v9, s5, v3
	v_and_b32_e32 v3, s4, v3
	v_add_co_u32_e32 v6, vcc, v3, v6
	v_addc_co_u32_e32 v7, vcc, v9, v7, vcc
	v_mov_b32_e32 v3, s5
	v_sub_co_u32_e32 v9, vcc, s4, v6
	v_subb_co_u32_e32 v3, vcc, v3, v7, vcc
	v_cmp_gt_i64_e32 vcc, s[8:9], v[6:7]
	v_cndmask_b32_e32 v7, v3, v7, vcc
	v_cndmask_b32_e32 v6, v9, v6, vcc
.LBB54_13:                              ;   in Loop: Header=BB54_3 Depth=1
	v_mul_lo_u32 v3, v5, s8
	v_mul_lo_u32 v9, v4, s9
	v_mad_u64_u32 v[4:5], s[0:1], v4, s8, 0
	v_add3_u32 v5, v5, v9, v3
	v_lshlrev_b64 v[4:5], 1, v[4:5]
	v_mov_b32_e32 v3, s17
	v_add_co_u32_e32 v9, vcc, s16, v4
	v_addc_co_u32_e32 v3, vcc, v3, v5, vcc
	v_lshlrev_b64 v[4:5], 1, v[6:7]
	v_add_co_u32_e32 v9, vcc, v9, v4
	v_addc_co_u32_e32 v5, vcc, v3, v5, vcc
	v_lshlrev_b64 v[6:7], 1, v[0:1]
	v_mov_b32_e32 v3, s19
	v_add_co_u32_e32 v6, vcc, s18, v6
	v_addc_co_u32_e32 v7, vcc, v3, v7, vcc
	v_and_b32_e32 v4, -3, v9
	global_load_ushort v3, v[6:7], off
	v_and_b32_e32 v10, 2, v9
	global_load_dword v7, v[4:5], off
	v_mov_b32_e32 v11, v2
	s_mov_b64 s[24:25], 0
	v_cmp_eq_u64_e32 vcc, 0, v[10:11]
	v_cmp_ne_u32_e64 s[0:1], 0, v10
	s_branch .LBB54_15
.LBB54_14:                              ;   in Loop: Header=BB54_15 Depth=2
	s_or_b64 exec, exec, s[2:3]
	global_atomic_cmpswap v6, v[4:5], v[6:7], off glc
	s_waitcnt vmcnt(0)
	v_cmp_eq_u32_e64 s[2:3], v7, v6
	s_or_b64 s[24:25], s[2:3], s[24:25]
	v_mov_b32_e32 v7, v6
	s_andn2_b64 exec, exec, s[24:25]
	s_cbranch_execz .LBB54_2
.LBB54_15:                              ;   Parent Loop BB54_3 Depth=1
                                        ; =>  This Inner Loop Header: Depth=2
	s_waitcnt vmcnt(0)
	v_lshrrev_b32_e32 v6, 16, v7
	v_cndmask_b32_e32 v6, v6, v7, vcc
	v_add_f16_e32 v9, v3, v6
	s_and_saveexec_b64 s[2:3], s[0:1]
	s_xor_b64 s[2:3], exec, s[2:3]
; %bb.16:                               ;   in Loop: Header=BB54_15 Depth=2
	v_and_b32_e32 v6, 0xffff, v7
	v_lshl_or_b32 v6, v9, 16, v6
                                        ; implicit-def: $vgpr9
; %bb.17:                               ;   in Loop: Header=BB54_15 Depth=2
	s_andn2_saveexec_b64 s[2:3], s[2:3]
	s_cbranch_execz .LBB54_14
; %bb.18:                               ;   in Loop: Header=BB54_15 Depth=2
	v_and_or_b32 v6, v7, s30, v9
	s_branch .LBB54_14
.LBB54_19:
	s_endpgm
	.section	.rodata,"a",@progbits
	.p2align	6, 0x0
	.amdhsa_kernel _ZN2at6native12_GLOBAL__N_130reflection_pad1d_backward_flatIN3c104HalfEEEvPT_PKS5_llll
		.amdhsa_group_segment_fixed_size 0
		.amdhsa_private_segment_fixed_size 0
		.amdhsa_kernarg_size 304
		.amdhsa_user_sgpr_count 6
		.amdhsa_user_sgpr_private_segment_buffer 1
		.amdhsa_user_sgpr_dispatch_ptr 0
		.amdhsa_user_sgpr_queue_ptr 0
		.amdhsa_user_sgpr_kernarg_segment_ptr 1
		.amdhsa_user_sgpr_dispatch_id 0
		.amdhsa_user_sgpr_flat_scratch_init 0
		.amdhsa_user_sgpr_kernarg_preload_length 0
		.amdhsa_user_sgpr_kernarg_preload_offset 0
		.amdhsa_user_sgpr_private_segment_size 0
		.amdhsa_uses_dynamic_stack 0
		.amdhsa_system_sgpr_private_segment_wavefront_offset 0
		.amdhsa_system_sgpr_workgroup_id_x 1
		.amdhsa_system_sgpr_workgroup_id_y 0
		.amdhsa_system_sgpr_workgroup_id_z 0
		.amdhsa_system_sgpr_workgroup_info 0
		.amdhsa_system_vgpr_workitem_id 0
		.amdhsa_next_free_vgpr 17
		.amdhsa_next_free_sgpr 31
		.amdhsa_accum_offset 20
		.amdhsa_reserve_vcc 1
		.amdhsa_reserve_flat_scratch 0
		.amdhsa_float_round_mode_32 0
		.amdhsa_float_round_mode_16_64 0
		.amdhsa_float_denorm_mode_32 3
		.amdhsa_float_denorm_mode_16_64 3
		.amdhsa_dx10_clamp 1
		.amdhsa_ieee_mode 1
		.amdhsa_fp16_overflow 0
		.amdhsa_tg_split 0
		.amdhsa_exception_fp_ieee_invalid_op 0
		.amdhsa_exception_fp_denorm_src 0
		.amdhsa_exception_fp_ieee_div_zero 0
		.amdhsa_exception_fp_ieee_overflow 0
		.amdhsa_exception_fp_ieee_underflow 0
		.amdhsa_exception_fp_ieee_inexact 0
		.amdhsa_exception_int_div_zero 0
	.end_amdhsa_kernel
	.section	.text._ZN2at6native12_GLOBAL__N_130reflection_pad1d_backward_flatIN3c104HalfEEEvPT_PKS5_llll,"axG",@progbits,_ZN2at6native12_GLOBAL__N_130reflection_pad1d_backward_flatIN3c104HalfEEEvPT_PKS5_llll,comdat
.Lfunc_end54:
	.size	_ZN2at6native12_GLOBAL__N_130reflection_pad1d_backward_flatIN3c104HalfEEEvPT_PKS5_llll, .Lfunc_end54-_ZN2at6native12_GLOBAL__N_130reflection_pad1d_backward_flatIN3c104HalfEEEvPT_PKS5_llll
                                        ; -- End function
	.section	.AMDGPU.csdata,"",@progbits
; Kernel info:
; codeLenInByte = 2148
; NumSgprs: 35
; NumVgprs: 17
; NumAgprs: 0
; TotalNumVgprs: 17
; ScratchSize: 0
; MemoryBound: 0
; FloatMode: 240
; IeeeMode: 1
; LDSByteSize: 0 bytes/workgroup (compile time only)
; SGPRBlocks: 4
; VGPRBlocks: 2
; NumSGPRsForWavesPerEU: 35
; NumVGPRsForWavesPerEU: 17
; AccumOffset: 20
; Occupancy: 8
; WaveLimiterHint : 0
; COMPUTE_PGM_RSRC2:SCRATCH_EN: 0
; COMPUTE_PGM_RSRC2:USER_SGPR: 6
; COMPUTE_PGM_RSRC2:TRAP_HANDLER: 0
; COMPUTE_PGM_RSRC2:TGID_X_EN: 1
; COMPUTE_PGM_RSRC2:TGID_Y_EN: 0
; COMPUTE_PGM_RSRC2:TGID_Z_EN: 0
; COMPUTE_PGM_RSRC2:TIDIG_COMP_CNT: 0
; COMPUTE_PGM_RSRC3_GFX90A:ACCUM_OFFSET: 4
; COMPUTE_PGM_RSRC3_GFX90A:TG_SPLIT: 0
	.section	.text._ZN2at6native12_GLOBAL__N_136reflection_pad1d_backward_out_kernelIN3c108BFloat16EEEvPT_PKS5_lll,"axG",@progbits,_ZN2at6native12_GLOBAL__N_136reflection_pad1d_backward_out_kernelIN3c108BFloat16EEEvPT_PKS5_lll,comdat
	.globl	_ZN2at6native12_GLOBAL__N_136reflection_pad1d_backward_out_kernelIN3c108BFloat16EEEvPT_PKS5_lll ; -- Begin function _ZN2at6native12_GLOBAL__N_136reflection_pad1d_backward_out_kernelIN3c108BFloat16EEEvPT_PKS5_lll
	.p2align	8
	.type	_ZN2at6native12_GLOBAL__N_136reflection_pad1d_backward_out_kernelIN3c108BFloat16EEEvPT_PKS5_lll,@function
_ZN2at6native12_GLOBAL__N_136reflection_pad1d_backward_out_kernelIN3c108BFloat16EEEvPT_PKS5_lll: ; @_ZN2at6native12_GLOBAL__N_136reflection_pad1d_backward_out_kernelIN3c108BFloat16EEEvPT_PKS5_lll
; %bb.0:
	s_load_dword s9, s[4:5], 0x34
	s_load_dwordx2 s[0:1], s[4:5], 0x20
	s_load_dwordx8 s[12:19], s[4:5], 0x0
	s_add_u32 s2, s4, 40
	s_addc_u32 s3, s5, 0
	s_waitcnt lgkmcnt(0)
	s_and_b32 s4, s9, 0xffff
	v_mov_b32_e32 v1, 0
	v_mov_b32_e32 v2, s6
	v_mad_u64_u32 v[2:3], s[4:5], s4, v2, v[0:1]
	s_add_u32 s4, s18, s16
	s_addc_u32 s5, s19, s17
	s_add_u32 s0, s4, s0
	s_addc_u32 s1, s5, s1
	v_cmp_gt_i64_e32 vcc, s[0:1], v[2:3]
	s_and_saveexec_b64 s[10:11], vcc
	s_cbranch_execz .LBB55_7
; %bb.1:
	s_load_dword s6, s[2:3], 0x4
	s_sub_u32 s2, 0, s18
	v_mov_b32_e32 v0, s19
	v_subrev_co_u32_e32 v4, vcc, s18, v2
	s_waitcnt lgkmcnt(0)
	s_mul_i32 s6, s6, s8
	s_subb_u32 s3, 0, s19
	s_add_i32 s8, s6, s7
	v_subb_co_u32_e32 v0, vcc, v3, v0, vcc
	s_mul_i32 s7, s8, s17
	s_mul_hi_u32 s9, s8, s16
	v_ashrrev_i32_e32 v5, 31, v0
	s_add_i32 s7, s9, s7
	s_mul_i32 s1, s1, s8
	s_mul_hi_u32 s9, s0, s8
	v_xor_b32_e32 v4, v4, v5
	s_mul_i32 s6, s8, s16
	s_add_i32 s1, s9, s1
	s_mul_i32 s0, s0, s8
	v_cmp_gt_i64_e64 s[8:9], s[2:3], 0
	v_xor_b32_e32 v0, v0, v5
	v_sub_co_u32_e32 v4, vcc, v4, v5
	s_and_b64 s[8:9], s[8:9], exec
	v_subb_co_u32_e32 v5, vcc, v0, v5, vcc
	s_cselect_b32 s8, s3, 0
	s_cselect_b32 s9, s2, 0
	v_cmp_gt_i64_e64 s[2:3], s[18:19], 0
	v_mov_b32_e32 v0, s5
	v_subrev_co_u32_e32 v6, vcc, s4, v2
	s_and_b64 s[2:3], s[2:3], exec
	v_subb_co_u32_e32 v0, vcc, v3, v0, vcc
	s_cselect_b32 s3, s19, 0
	s_cselect_b32 s2, s18, 0
	v_add_co_u32_e32 v6, vcc, 1, v6
	v_addc_co_u32_e32 v0, vcc, 0, v0, vcc
	s_not_b64 s[2:3], s[2:3]
	v_ashrrev_i32_e32 v7, 31, v0
	s_add_u32 s4, s4, s18
	v_xor_b32_e32 v6, v6, v7
	s_addc_u32 s5, s5, s19
	v_xor_b32_e32 v0, v0, v7
	v_sub_co_u32_e32 v6, vcc, v6, v7
	s_add_u32 s2, s4, s2
	v_subb_co_u32_e32 v0, vcc, v0, v7, vcc
	s_addc_u32 s3, s5, s3
	s_add_u32 s2, s2, s9
	v_add_co_u32_e32 v6, vcc, v2, v6
	s_addc_u32 s3, s3, s8
	v_addc_co_u32_e32 v0, vcc, v3, v0, vcc
	v_mov_b32_e32 v7, s3
	v_sub_co_u32_e32 v6, vcc, s2, v6
	v_subb_co_u32_e32 v7, vcc, v7, v0, vcc
	v_lshlrev_b64 v[6:7], 1, v[6:7]
	v_mov_b32_e32 v0, s13
	v_add_co_u32_e32 v6, vcc, s12, v6
	v_addc_co_u32_e32 v0, vcc, v0, v7, vcc
	v_lshlrev_b64 v[4:5], 1, v[4:5]
	s_lshl_b64 s[2:3], s[6:7], 1
	s_lshl_b64 s[0:1], s[0:1], 1
	v_add_co_u32_e32 v4, vcc, v6, v4
	s_add_u32 s0, s14, s0
	v_addc_co_u32_e32 v0, vcc, v0, v5, vcc
	s_addc_u32 s1, s15, s1
	v_lshlrev_b64 v[2:3], 1, v[2:3]
	v_mov_b32_e32 v6, s1
	v_add_co_u32_e32 v2, vcc, s0, v2
	v_addc_co_u32_e32 v3, vcc, v6, v3, vcc
	v_mov_b32_e32 v5, s3
	v_add_co_u32_e32 v4, vcc, s2, v4
	global_load_ushort v6, v[2:3], off
	v_addc_co_u32_e32 v3, vcc, v0, v5, vcc
	v_and_b32_e32 v2, -3, v4
	global_load_dword v5, v[2:3], off
	v_and_b32_e32 v0, 2, v4
	s_mov_b64 s[4:5], 0
	v_cmp_eq_u64_e32 vcc, 0, v[0:1]
	v_cmp_ne_u32_e64 s[0:1], 0, v0
	s_movk_i32 s6, 0x7fff
	v_mov_b32_e32 v1, 0x7fc0
	s_mov_b32 s7, 0xffff0000
	s_waitcnt vmcnt(1)
	v_lshlrev_b32_e32 v0, 16, v6
	s_branch .LBB55_3
.LBB55_2:                               ;   in Loop: Header=BB55_3 Depth=1
	s_or_b64 exec, exec, s[2:3]
	global_atomic_cmpswap v4, v[2:3], v[4:5], off glc
	s_waitcnt vmcnt(0)
	v_cmp_eq_u32_e64 s[2:3], v5, v4
	s_or_b64 s[4:5], s[2:3], s[4:5]
	v_mov_b32_e32 v5, v4
	s_andn2_b64 exec, exec, s[4:5]
	s_cbranch_execz .LBB55_7
.LBB55_3:                               ; =>This Inner Loop Header: Depth=1
	s_waitcnt vmcnt(0)
	v_lshrrev_b32_e32 v4, 16, v5
	v_cndmask_b32_e32 v4, v4, v5, vcc
	v_lshlrev_b32_e32 v4, 16, v4
	v_add_f32_e32 v4, v0, v4
	v_bfe_u32 v6, v4, 16, 1
	v_add3_u32 v6, v4, v6, s6
	v_lshrrev_b32_e32 v6, 16, v6
	v_cmp_o_f32_e64 s[2:3], v4, v4
	v_cndmask_b32_e64 v6, v1, v6, s[2:3]
	s_and_saveexec_b64 s[2:3], s[0:1]
	s_xor_b64 s[2:3], exec, s[2:3]
; %bb.4:                                ;   in Loop: Header=BB55_3 Depth=1
	v_and_b32_e32 v4, 0xffff, v5
	v_lshl_or_b32 v4, v6, 16, v4
                                        ; implicit-def: $vgpr6
; %bb.5:                                ;   in Loop: Header=BB55_3 Depth=1
	s_andn2_saveexec_b64 s[2:3], s[2:3]
	s_cbranch_execz .LBB55_2
; %bb.6:                                ;   in Loop: Header=BB55_3 Depth=1
	v_and_or_b32 v4, v5, s7, v6
	s_branch .LBB55_2
.LBB55_7:
	s_endpgm
	.section	.rodata,"a",@progbits
	.p2align	6, 0x0
	.amdhsa_kernel _ZN2at6native12_GLOBAL__N_136reflection_pad1d_backward_out_kernelIN3c108BFloat16EEEvPT_PKS5_lll
		.amdhsa_group_segment_fixed_size 0
		.amdhsa_private_segment_fixed_size 0
		.amdhsa_kernarg_size 296
		.amdhsa_user_sgpr_count 6
		.amdhsa_user_sgpr_private_segment_buffer 1
		.amdhsa_user_sgpr_dispatch_ptr 0
		.amdhsa_user_sgpr_queue_ptr 0
		.amdhsa_user_sgpr_kernarg_segment_ptr 1
		.amdhsa_user_sgpr_dispatch_id 0
		.amdhsa_user_sgpr_flat_scratch_init 0
		.amdhsa_user_sgpr_kernarg_preload_length 0
		.amdhsa_user_sgpr_kernarg_preload_offset 0
		.amdhsa_user_sgpr_private_segment_size 0
		.amdhsa_uses_dynamic_stack 0
		.amdhsa_system_sgpr_private_segment_wavefront_offset 0
		.amdhsa_system_sgpr_workgroup_id_x 1
		.amdhsa_system_sgpr_workgroup_id_y 1
		.amdhsa_system_sgpr_workgroup_id_z 1
		.amdhsa_system_sgpr_workgroup_info 0
		.amdhsa_system_vgpr_workitem_id 0
		.amdhsa_next_free_vgpr 8
		.amdhsa_next_free_sgpr 20
		.amdhsa_accum_offset 8
		.amdhsa_reserve_vcc 1
		.amdhsa_reserve_flat_scratch 0
		.amdhsa_float_round_mode_32 0
		.amdhsa_float_round_mode_16_64 0
		.amdhsa_float_denorm_mode_32 3
		.amdhsa_float_denorm_mode_16_64 3
		.amdhsa_dx10_clamp 1
		.amdhsa_ieee_mode 1
		.amdhsa_fp16_overflow 0
		.amdhsa_tg_split 0
		.amdhsa_exception_fp_ieee_invalid_op 0
		.amdhsa_exception_fp_denorm_src 0
		.amdhsa_exception_fp_ieee_div_zero 0
		.amdhsa_exception_fp_ieee_overflow 0
		.amdhsa_exception_fp_ieee_underflow 0
		.amdhsa_exception_fp_ieee_inexact 0
		.amdhsa_exception_int_div_zero 0
	.end_amdhsa_kernel
	.section	.text._ZN2at6native12_GLOBAL__N_136reflection_pad1d_backward_out_kernelIN3c108BFloat16EEEvPT_PKS5_lll,"axG",@progbits,_ZN2at6native12_GLOBAL__N_136reflection_pad1d_backward_out_kernelIN3c108BFloat16EEEvPT_PKS5_lll,comdat
.Lfunc_end55:
	.size	_ZN2at6native12_GLOBAL__N_136reflection_pad1d_backward_out_kernelIN3c108BFloat16EEEvPT_PKS5_lll, .Lfunc_end55-_ZN2at6native12_GLOBAL__N_136reflection_pad1d_backward_out_kernelIN3c108BFloat16EEEvPT_PKS5_lll
                                        ; -- End function
	.section	.AMDGPU.csdata,"",@progbits
; Kernel info:
; codeLenInByte = 608
; NumSgprs: 24
; NumVgprs: 8
; NumAgprs: 0
; TotalNumVgprs: 8
; ScratchSize: 0
; MemoryBound: 0
; FloatMode: 240
; IeeeMode: 1
; LDSByteSize: 0 bytes/workgroup (compile time only)
; SGPRBlocks: 2
; VGPRBlocks: 0
; NumSGPRsForWavesPerEU: 24
; NumVGPRsForWavesPerEU: 8
; AccumOffset: 8
; Occupancy: 8
; WaveLimiterHint : 0
; COMPUTE_PGM_RSRC2:SCRATCH_EN: 0
; COMPUTE_PGM_RSRC2:USER_SGPR: 6
; COMPUTE_PGM_RSRC2:TRAP_HANDLER: 0
; COMPUTE_PGM_RSRC2:TGID_X_EN: 1
; COMPUTE_PGM_RSRC2:TGID_Y_EN: 1
; COMPUTE_PGM_RSRC2:TGID_Z_EN: 1
; COMPUTE_PGM_RSRC2:TIDIG_COMP_CNT: 0
; COMPUTE_PGM_RSRC3_GFX90A:ACCUM_OFFSET: 1
; COMPUTE_PGM_RSRC3_GFX90A:TG_SPLIT: 0
	.section	.text._ZN2at6native12_GLOBAL__N_130reflection_pad1d_backward_flatIN3c108BFloat16EEEvPT_PKS5_llll,"axG",@progbits,_ZN2at6native12_GLOBAL__N_130reflection_pad1d_backward_flatIN3c108BFloat16EEEvPT_PKS5_llll,comdat
	.globl	_ZN2at6native12_GLOBAL__N_130reflection_pad1d_backward_flatIN3c108BFloat16EEEvPT_PKS5_llll ; -- Begin function _ZN2at6native12_GLOBAL__N_130reflection_pad1d_backward_flatIN3c108BFloat16EEEvPT_PKS5_llll
	.p2align	8
	.type	_ZN2at6native12_GLOBAL__N_130reflection_pad1d_backward_flatIN3c108BFloat16EEEvPT_PKS5_llll,@function
_ZN2at6native12_GLOBAL__N_130reflection_pad1d_backward_flatIN3c108BFloat16EEEvPT_PKS5_llll: ; @_ZN2at6native12_GLOBAL__N_130reflection_pad1d_backward_flatIN3c108BFloat16EEEvPT_PKS5_llll
; %bb.0:
	s_load_dword s2, s[4:5], 0x3c
	s_load_dwordx8 s[8:15], s[4:5], 0x10
	s_add_u32 s0, s4, 48
	v_mov_b32_e32 v2, 0
	s_addc_u32 s1, s5, 0
	s_waitcnt lgkmcnt(0)
	s_and_b32 s2, s2, 0xffff
	s_mul_i32 s3, s14, s13
	s_mul_hi_u32 s7, s14, s12
	v_mov_b32_e32 v1, v2
	s_add_i32 s3, s7, s3
	s_mul_i32 s7, s15, s12
	v_mov_b32_e32 v3, s6
	s_add_i32 s15, s3, s7
	s_mul_i32 s14, s14, s12
	v_mad_u64_u32 v[0:1], s[6:7], s2, v3, v[0:1]
	v_cmp_gt_i64_e32 vcc, s[14:15], v[0:1]
	s_and_saveexec_b64 s[6:7], vcc
	s_cbranch_execz .LBB56_19
; %bb.1:
	v_cvt_f32_u32_e32 v3, s12
	s_load_dword s3, s[0:1], 0x0
	s_load_dwordx4 s[16:19], s[4:5], 0x0
	s_lshl_b64 s[0:1], s[8:9], 1
	s_add_u32 s4, s0, -2
	v_rcp_iflag_f32_e32 v3, v3
	s_addc_u32 s5, s1, -1
	s_waitcnt lgkmcnt(0)
	s_mul_hi_u32 s28, s2, s3
	s_mul_i32 s29, s2, s3
	v_mul_f32_e32 v3, 0x4f7ffffe, v3
	v_cvt_u32_f32_e32 v8, v3
	s_mov_b64 s[6:7], 0
	s_ashr_i32 s20, s13, 31
	s_movk_i32 s30, 0x7fff
	s_mov_b32 s31, 0xffff0000
	v_cmp_gt_i64_e64 s[22:23], s[4:5], 0
	v_mov_b32_e32 v9, 0x7fc0
	s_branch .LBB56_3
.LBB56_2:                               ;   in Loop: Header=BB56_3 Depth=1
	s_or_b64 exec, exec, s[24:25]
	v_mov_b32_e32 v3, s28
	v_add_co_u32_e32 v0, vcc, s29, v0
	v_addc_co_u32_e32 v1, vcc, v1, v3, vcc
	v_cmp_le_i64_e32 vcc, s[14:15], v[0:1]
	s_or_b64 s[6:7], vcc, s[6:7]
	s_andn2_b64 exec, exec, s[6:7]
	s_cbranch_execz .LBB56_19
.LBB56_3:                               ; =>This Loop Header: Depth=1
                                        ;     Child Loop BB56_15 Depth 2
	v_or_b32_e32 v3, s13, v1
	v_cmp_ne_u64_e32 vcc, 0, v[2:3]
                                        ; implicit-def: $vgpr4_vgpr5
	s_and_saveexec_b64 s[0:1], vcc
	s_xor_b64 s[2:3], exec, s[0:1]
	s_cbranch_execnz .LBB56_6
; %bb.4:                                ;   in Loop: Header=BB56_3 Depth=1
	s_andn2_saveexec_b64 s[0:1], s[2:3]
	s_cbranch_execnz .LBB56_7
.LBB56_5:                               ;   in Loop: Header=BB56_3 Depth=1
	s_or_b64 exec, exec, s[0:1]
	s_andn2_b64 vcc, exec, s[22:23]
	v_pk_mov_b32 v[6:7], 0, 0
	s_cbranch_vccz .LBB56_8
	s_branch .LBB56_13
.LBB56_6:                               ;   in Loop: Header=BB56_3 Depth=1
	s_add_u32 s0, s12, s20
	s_mov_b32 s21, s20
	s_addc_u32 s1, s13, s20
	s_xor_b64 s[24:25], s[0:1], s[20:21]
	v_cvt_f32_u32_e32 v3, s24
	v_cvt_f32_u32_e32 v4, s25
	s_sub_u32 s0, 0, s24
	s_subb_u32 s1, 0, s25
	v_mac_f32_e32 v3, 0x4f800000, v4
	v_rcp_f32_e32 v3, v3
	v_mul_f32_e32 v3, 0x5f7ffffc, v3
	v_mul_f32_e32 v4, 0x2f800000, v3
	v_trunc_f32_e32 v4, v4
	v_mac_f32_e32 v3, 0xcf800000, v4
	v_cvt_u32_f32_e32 v4, v4
	v_cvt_u32_f32_e32 v3, v3
	v_mul_lo_u32 v5, s0, v4
	v_mul_hi_u32 v7, s0, v3
	v_mul_lo_u32 v6, s1, v3
	v_add_u32_e32 v5, v7, v5
	v_mul_lo_u32 v10, s0, v3
	v_add_u32_e32 v5, v5, v6
	v_mul_lo_u32 v7, v3, v5
	v_mul_hi_u32 v11, v3, v10
	v_mul_hi_u32 v6, v3, v5
	v_add_co_u32_e32 v7, vcc, v11, v7
	v_addc_co_u32_e32 v6, vcc, 0, v6, vcc
	v_mul_hi_u32 v12, v4, v10
	v_mul_lo_u32 v10, v4, v10
	v_add_co_u32_e32 v7, vcc, v7, v10
	v_mul_hi_u32 v11, v4, v5
	v_addc_co_u32_e32 v6, vcc, v6, v12, vcc
	v_addc_co_u32_e32 v7, vcc, 0, v11, vcc
	v_mul_lo_u32 v5, v4, v5
	v_add_co_u32_e32 v5, vcc, v6, v5
	v_addc_co_u32_e32 v6, vcc, 0, v7, vcc
	v_add_co_u32_e32 v3, vcc, v3, v5
	v_addc_co_u32_e32 v4, vcc, v4, v6, vcc
	v_mul_lo_u32 v5, s0, v4
	v_mul_hi_u32 v6, s0, v3
	v_add_u32_e32 v5, v6, v5
	v_mul_lo_u32 v6, s1, v3
	v_add_u32_e32 v5, v5, v6
	v_mul_lo_u32 v7, s0, v3
	v_mul_hi_u32 v10, v4, v7
	v_mul_lo_u32 v11, v4, v7
	v_mul_lo_u32 v13, v3, v5
	v_mul_hi_u32 v7, v3, v7
	v_mul_hi_u32 v12, v3, v5
	v_add_co_u32_e32 v7, vcc, v7, v13
	v_addc_co_u32_e32 v12, vcc, 0, v12, vcc
	v_add_co_u32_e32 v7, vcc, v7, v11
	v_mul_hi_u32 v6, v4, v5
	v_addc_co_u32_e32 v7, vcc, v12, v10, vcc
	v_addc_co_u32_e32 v6, vcc, 0, v6, vcc
	v_mul_lo_u32 v5, v4, v5
	v_add_co_u32_e32 v5, vcc, v7, v5
	v_addc_co_u32_e32 v6, vcc, 0, v6, vcc
	v_add_co_u32_e32 v3, vcc, v3, v5
	v_addc_co_u32_e32 v6, vcc, v4, v6, vcc
	v_ashrrev_i32_e32 v10, 31, v1
	v_add_co_u32_e32 v4, vcc, v0, v10
	v_addc_co_u32_e32 v5, vcc, v1, v10, vcc
	v_xor_b32_e32 v12, v4, v10
	v_xor_b32_e32 v11, v5, v10
	v_mad_u64_u32 v[4:5], s[0:1], v12, v6, 0
	v_mul_hi_u32 v7, v12, v3
	v_add_co_u32_e32 v13, vcc, v7, v4
	v_addc_co_u32_e32 v14, vcc, 0, v5, vcc
	v_mad_u64_u32 v[4:5], s[0:1], v11, v6, 0
	v_mad_u64_u32 v[6:7], s[0:1], v11, v3, 0
	v_add_co_u32_e32 v3, vcc, v13, v6
	v_addc_co_u32_e32 v3, vcc, v14, v7, vcc
	v_addc_co_u32_e32 v5, vcc, 0, v5, vcc
	v_add_co_u32_e32 v3, vcc, v3, v4
	v_addc_co_u32_e32 v6, vcc, 0, v5, vcc
	v_mul_lo_u32 v7, s25, v3
	v_mul_lo_u32 v13, s24, v6
	v_mad_u64_u32 v[4:5], s[0:1], s24, v3, 0
	v_add3_u32 v5, v5, v13, v7
	v_sub_u32_e32 v7, v11, v5
	v_mov_b32_e32 v13, s25
	v_sub_co_u32_e32 v4, vcc, v12, v4
	v_subb_co_u32_e64 v7, s[0:1], v7, v13, vcc
	v_subrev_co_u32_e64 v12, s[0:1], s24, v4
	v_subbrev_co_u32_e64 v7, s[0:1], 0, v7, s[0:1]
	v_cmp_le_u32_e64 s[0:1], s25, v7
	v_cndmask_b32_e64 v13, 0, -1, s[0:1]
	v_cmp_le_u32_e64 s[0:1], s24, v12
	v_cndmask_b32_e64 v12, 0, -1, s[0:1]
	v_cmp_eq_u32_e64 s[0:1], s25, v7
	v_cndmask_b32_e64 v7, v13, v12, s[0:1]
	v_add_co_u32_e64 v12, s[0:1], 2, v3
	v_subb_co_u32_e32 v5, vcc, v11, v5, vcc
	v_addc_co_u32_e64 v13, s[0:1], 0, v6, s[0:1]
	v_cmp_le_u32_e32 vcc, s25, v5
	v_add_co_u32_e64 v14, s[0:1], 1, v3
	v_cndmask_b32_e64 v11, 0, -1, vcc
	v_cmp_le_u32_e32 vcc, s24, v4
	v_addc_co_u32_e64 v15, s[0:1], 0, v6, s[0:1]
	v_cndmask_b32_e64 v4, 0, -1, vcc
	v_cmp_eq_u32_e32 vcc, s25, v5
	v_cmp_ne_u32_e64 s[0:1], 0, v7
	v_cndmask_b32_e32 v4, v11, v4, vcc
	v_cmp_ne_u32_e32 vcc, 0, v4
	v_cndmask_b32_e64 v5, v14, v12, s[0:1]
	v_cndmask_b32_e64 v7, v15, v13, s[0:1]
	v_cndmask_b32_e32 v3, v3, v5, vcc
	v_xor_b32_e32 v5, s20, v10
	v_cndmask_b32_e32 v4, v6, v7, vcc
	v_xor_b32_e32 v3, v3, v5
	v_xor_b32_e32 v6, v4, v5
	v_sub_co_u32_e32 v4, vcc, v3, v5
	v_subb_co_u32_e32 v5, vcc, v6, v5, vcc
	s_andn2_saveexec_b64 s[0:1], s[2:3]
	s_cbranch_execz .LBB56_5
.LBB56_7:                               ;   in Loop: Header=BB56_3 Depth=1
	s_sub_i32 s2, 0, s12
	v_mul_lo_u32 v3, s2, v8
	v_mul_hi_u32 v3, v8, v3
	v_add_u32_e32 v3, v8, v3
	v_mul_hi_u32 v3, v0, v3
	v_mul_lo_u32 v4, v3, s12
	v_sub_u32_e32 v4, v0, v4
	v_subrev_u32_e32 v5, s12, v4
	v_cmp_le_u32_e32 vcc, s12, v4
	v_cndmask_b32_e32 v4, v4, v5, vcc
	v_add_u32_e32 v5, 1, v3
	v_cndmask_b32_e32 v3, v3, v5, vcc
	v_add_u32_e32 v5, 1, v3
	v_cmp_le_u32_e32 vcc, s12, v4
	v_cndmask_b32_e32 v4, v3, v5, vcc
	v_mov_b32_e32 v5, v2
	s_or_b64 exec, exec, s[0:1]
	s_andn2_b64 vcc, exec, s[22:23]
	v_pk_mov_b32 v[6:7], 0, 0
	s_cbranch_vccnz .LBB56_13
.LBB56_8:                               ;   in Loop: Header=BB56_3 Depth=1
	v_pk_mov_b32 v[6:7], s[10:11], s[10:11] op_sel:[0,1]
	v_mad_u64_u32 v[6:7], s[0:1], v4, s12, v[6:7]
	v_mul_lo_u32 v3, v4, s13
	v_mul_lo_u32 v10, v5, s12
	v_add3_u32 v3, v10, v7, v3
	v_sub_co_u32_e32 v10, vcc, v0, v6
	v_subb_co_u32_e32 v11, vcc, v1, v3, vcc
	v_or_b32_e32 v3, s5, v11
	v_cmp_ne_u64_e32 vcc, 0, v[2:3]
                                        ; implicit-def: $vgpr6_vgpr7
	s_and_saveexec_b64 s[0:1], vcc
	s_xor_b64 s[24:25], exec, s[0:1]
	s_cbranch_execz .LBB56_10
; %bb.9:                                ;   in Loop: Header=BB56_3 Depth=1
	s_ashr_i32 s0, s5, 31
	s_add_u32 s2, s4, s0
	s_mov_b32 s1, s0
	s_addc_u32 s3, s5, s0
	s_xor_b64 s[26:27], s[2:3], s[0:1]
	v_cvt_f32_u32_e32 v3, s26
	v_cvt_f32_u32_e32 v6, s27
	s_sub_u32 s0, 0, s26
	s_subb_u32 s1, 0, s27
	v_mac_f32_e32 v3, 0x4f800000, v6
	v_rcp_f32_e32 v3, v3
	v_mul_f32_e32 v3, 0x5f7ffffc, v3
	v_mul_f32_e32 v6, 0x2f800000, v3
	v_trunc_f32_e32 v6, v6
	v_mac_f32_e32 v3, 0xcf800000, v6
	v_cvt_u32_f32_e32 v6, v6
	v_cvt_u32_f32_e32 v3, v3
	v_mul_lo_u32 v7, s0, v6
	v_mul_hi_u32 v13, s0, v3
	v_mul_lo_u32 v12, s1, v3
	v_add_u32_e32 v7, v13, v7
	v_mul_lo_u32 v14, s0, v3
	v_add_u32_e32 v7, v7, v12
	v_mul_lo_u32 v13, v3, v7
	v_mul_hi_u32 v15, v3, v14
	v_mul_hi_u32 v12, v3, v7
	v_add_co_u32_e32 v13, vcc, v15, v13
	v_addc_co_u32_e32 v12, vcc, 0, v12, vcc
	v_mul_hi_u32 v16, v6, v14
	v_mul_lo_u32 v14, v6, v14
	v_add_co_u32_e32 v13, vcc, v13, v14
	v_mul_hi_u32 v15, v6, v7
	v_addc_co_u32_e32 v12, vcc, v12, v16, vcc
	v_addc_co_u32_e32 v13, vcc, 0, v15, vcc
	v_mul_lo_u32 v7, v6, v7
	v_add_co_u32_e32 v7, vcc, v12, v7
	v_addc_co_u32_e32 v12, vcc, 0, v13, vcc
	v_add_co_u32_e32 v3, vcc, v3, v7
	v_addc_co_u32_e32 v6, vcc, v6, v12, vcc
	v_mul_lo_u32 v7, s0, v6
	v_mul_hi_u32 v12, s0, v3
	v_add_u32_e32 v7, v12, v7
	v_mul_lo_u32 v12, s1, v3
	v_add_u32_e32 v7, v7, v12
	v_mul_lo_u32 v13, s0, v3
	v_mul_hi_u32 v14, v6, v13
	v_mul_lo_u32 v15, v6, v13
	v_mul_lo_u32 v17, v3, v7
	v_mul_hi_u32 v13, v3, v13
	v_mul_hi_u32 v16, v3, v7
	v_add_co_u32_e32 v13, vcc, v13, v17
	v_addc_co_u32_e32 v16, vcc, 0, v16, vcc
	v_add_co_u32_e32 v13, vcc, v13, v15
	v_mul_hi_u32 v12, v6, v7
	v_addc_co_u32_e32 v13, vcc, v16, v14, vcc
	v_addc_co_u32_e32 v12, vcc, 0, v12, vcc
	v_mul_lo_u32 v7, v6, v7
	v_add_co_u32_e32 v7, vcc, v13, v7
	v_addc_co_u32_e32 v12, vcc, 0, v12, vcc
	v_add_co_u32_e32 v3, vcc, v3, v7
	v_addc_co_u32_e32 v12, vcc, v6, v12, vcc
	v_ashrrev_i32_e32 v13, 31, v11
	v_add_co_u32_e32 v6, vcc, v10, v13
	v_addc_co_u32_e32 v7, vcc, v11, v13, vcc
	v_xor_b32_e32 v15, v6, v13
	v_xor_b32_e32 v14, v7, v13
	v_mad_u64_u32 v[6:7], s[0:1], v15, v12, 0
	v_mul_hi_u32 v10, v15, v3
	v_add_co_u32_e32 v16, vcc, v10, v6
	v_addc_co_u32_e32 v17, vcc, 0, v7, vcc
	v_mad_u64_u32 v[10:11], s[0:1], v14, v3, 0
	v_add_co_u32_e32 v3, vcc, v16, v10
	v_mad_u64_u32 v[6:7], s[0:1], v14, v12, 0
	v_addc_co_u32_e32 v3, vcc, v17, v11, vcc
	v_addc_co_u32_e32 v7, vcc, 0, v7, vcc
	v_add_co_u32_e32 v3, vcc, v3, v6
	v_addc_co_u32_e32 v6, vcc, 0, v7, vcc
	v_mul_lo_u32 v10, s27, v3
	v_mul_lo_u32 v11, s26, v6
	v_mad_u64_u32 v[6:7], s[0:1], s26, v3, 0
	v_add3_u32 v3, v7, v11, v10
	v_sub_u32_e32 v7, v14, v3
	v_mov_b32_e32 v10, s27
	v_sub_co_u32_e32 v6, vcc, v15, v6
	v_subb_co_u32_e64 v7, s[0:1], v7, v10, vcc
	v_subrev_co_u32_e64 v11, s[0:1], s26, v6
	v_subbrev_co_u32_e64 v12, s[2:3], 0, v7, s[0:1]
	v_cmp_le_u32_e64 s[2:3], s27, v12
	v_cndmask_b32_e64 v15, 0, -1, s[2:3]
	v_cmp_le_u32_e64 s[2:3], s26, v11
	v_subb_co_u32_e64 v7, s[0:1], v7, v10, s[0:1]
	v_cndmask_b32_e64 v16, 0, -1, s[2:3]
	v_cmp_eq_u32_e64 s[2:3], s27, v12
	v_subrev_co_u32_e64 v10, s[0:1], s26, v11
	v_cndmask_b32_e64 v15, v15, v16, s[2:3]
	v_subbrev_co_u32_e64 v7, s[0:1], 0, v7, s[0:1]
	v_subb_co_u32_e32 v3, vcc, v14, v3, vcc
	v_cmp_ne_u32_e64 s[0:1], 0, v15
	v_cmp_le_u32_e32 vcc, s27, v3
	v_cndmask_b32_e64 v7, v12, v7, s[0:1]
	v_cndmask_b32_e64 v12, 0, -1, vcc
	v_cmp_le_u32_e32 vcc, s26, v6
	v_cndmask_b32_e64 v14, 0, -1, vcc
	v_cmp_eq_u32_e32 vcc, s27, v3
	v_cndmask_b32_e32 v12, v12, v14, vcc
	v_cmp_ne_u32_e32 vcc, 0, v12
	v_cndmask_b32_e32 v3, v3, v7, vcc
	v_cndmask_b32_e64 v7, v11, v10, s[0:1]
	v_cndmask_b32_e32 v6, v6, v7, vcc
	v_xor_b32_e32 v6, v6, v13
	v_xor_b32_e32 v3, v3, v13
	v_sub_co_u32_e32 v6, vcc, v6, v13
	v_subb_co_u32_e32 v7, vcc, v3, v13, vcc
                                        ; implicit-def: $vgpr10
.LBB56_10:                              ;   in Loop: Header=BB56_3 Depth=1
	s_andn2_saveexec_b64 s[0:1], s[24:25]
	s_cbranch_execz .LBB56_12
; %bb.11:                               ;   in Loop: Header=BB56_3 Depth=1
	v_cvt_f32_u32_e32 v3, s4
	s_sub_i32 s2, 0, s4
	v_mov_b32_e32 v7, v2
	v_rcp_iflag_f32_e32 v3, v3
	v_mul_f32_e32 v3, 0x4f7ffffe, v3
	v_cvt_u32_f32_e32 v3, v3
	v_mul_lo_u32 v6, s2, v3
	v_mul_hi_u32 v6, v3, v6
	v_add_u32_e32 v3, v3, v6
	v_mul_hi_u32 v3, v10, v3
	v_mul_lo_u32 v3, v3, s4
	v_sub_u32_e32 v3, v10, v3
	v_subrev_u32_e32 v6, s4, v3
	v_cmp_le_u32_e32 vcc, s4, v3
	v_cndmask_b32_e32 v3, v3, v6, vcc
	v_subrev_u32_e32 v6, s4, v3
	v_cmp_le_u32_e32 vcc, s4, v3
	v_cndmask_b32_e32 v6, v3, v6, vcc
.LBB56_12:                              ;   in Loop: Header=BB56_3 Depth=1
	s_or_b64 exec, exec, s[0:1]
	v_ashrrev_i32_e32 v3, 31, v7
	v_and_b32_e32 v10, s5, v3
	v_and_b32_e32 v3, s4, v3
	v_add_co_u32_e32 v6, vcc, v3, v6
	v_addc_co_u32_e32 v7, vcc, v10, v7, vcc
	v_mov_b32_e32 v3, s5
	v_sub_co_u32_e32 v10, vcc, s4, v6
	v_subb_co_u32_e32 v3, vcc, v3, v7, vcc
	v_cmp_gt_i64_e32 vcc, s[8:9], v[6:7]
	v_cndmask_b32_e32 v7, v3, v7, vcc
	v_cndmask_b32_e32 v6, v10, v6, vcc
.LBB56_13:                              ;   in Loop: Header=BB56_3 Depth=1
	v_mul_lo_u32 v3, v5, s8
	v_mul_lo_u32 v10, v4, s9
	v_mad_u64_u32 v[4:5], s[0:1], v4, s8, 0
	v_add3_u32 v5, v5, v10, v3
	v_lshlrev_b64 v[4:5], 1, v[4:5]
	v_mov_b32_e32 v3, s17
	v_add_co_u32_e32 v10, vcc, s16, v4
	v_addc_co_u32_e32 v3, vcc, v3, v5, vcc
	v_lshlrev_b64 v[4:5], 1, v[6:7]
	v_add_co_u32_e32 v12, vcc, v10, v4
	v_addc_co_u32_e32 v5, vcc, v3, v5, vcc
	v_lshlrev_b64 v[6:7], 1, v[0:1]
	v_mov_b32_e32 v3, s19
	v_add_co_u32_e32 v10, vcc, s18, v6
	v_addc_co_u32_e32 v11, vcc, v3, v7, vcc
	v_and_b32_e32 v4, -3, v12
	global_load_ushort v3, v[10:11], off
	global_load_dword v7, v[4:5], off
	v_and_b32_e32 v10, 2, v12
	v_mov_b32_e32 v11, v2
	s_mov_b64 s[24:25], 0
	v_cmp_eq_u64_e32 vcc, 0, v[10:11]
	v_cmp_ne_u32_e64 s[0:1], 0, v10
	s_waitcnt vmcnt(1)
	v_lshlrev_b32_e32 v3, 16, v3
	s_branch .LBB56_15
.LBB56_14:                              ;   in Loop: Header=BB56_15 Depth=2
	s_or_b64 exec, exec, s[2:3]
	global_atomic_cmpswap v6, v[4:5], v[6:7], off glc
	s_waitcnt vmcnt(0)
	v_cmp_eq_u32_e64 s[2:3], v7, v6
	s_or_b64 s[24:25], s[2:3], s[24:25]
	v_mov_b32_e32 v7, v6
	s_andn2_b64 exec, exec, s[24:25]
	s_cbranch_execz .LBB56_2
.LBB56_15:                              ;   Parent Loop BB56_3 Depth=1
                                        ; =>  This Inner Loop Header: Depth=2
	s_waitcnt vmcnt(0)
	v_lshrrev_b32_e32 v6, 16, v7
	v_cndmask_b32_e32 v6, v6, v7, vcc
	v_lshlrev_b32_e32 v6, 16, v6
	v_add_f32_e32 v6, v3, v6
	v_bfe_u32 v10, v6, 16, 1
	v_add3_u32 v10, v6, v10, s30
	v_lshrrev_b32_e32 v10, 16, v10
	v_cmp_o_f32_e64 s[2:3], v6, v6
	v_cndmask_b32_e64 v10, v9, v10, s[2:3]
	s_and_saveexec_b64 s[2:3], s[0:1]
	s_xor_b64 s[2:3], exec, s[2:3]
; %bb.16:                               ;   in Loop: Header=BB56_15 Depth=2
	v_and_b32_e32 v6, 0xffff, v7
	v_lshl_or_b32 v6, v10, 16, v6
                                        ; implicit-def: $vgpr10
; %bb.17:                               ;   in Loop: Header=BB56_15 Depth=2
	s_andn2_saveexec_b64 s[2:3], s[2:3]
	s_cbranch_execz .LBB56_14
; %bb.18:                               ;   in Loop: Header=BB56_15 Depth=2
	v_and_or_b32 v6, v7, s31, v10
	s_branch .LBB56_14
.LBB56_19:
	s_endpgm
	.section	.rodata,"a",@progbits
	.p2align	6, 0x0
	.amdhsa_kernel _ZN2at6native12_GLOBAL__N_130reflection_pad1d_backward_flatIN3c108BFloat16EEEvPT_PKS5_llll
		.amdhsa_group_segment_fixed_size 0
		.amdhsa_private_segment_fixed_size 0
		.amdhsa_kernarg_size 304
		.amdhsa_user_sgpr_count 6
		.amdhsa_user_sgpr_private_segment_buffer 1
		.amdhsa_user_sgpr_dispatch_ptr 0
		.amdhsa_user_sgpr_queue_ptr 0
		.amdhsa_user_sgpr_kernarg_segment_ptr 1
		.amdhsa_user_sgpr_dispatch_id 0
		.amdhsa_user_sgpr_flat_scratch_init 0
		.amdhsa_user_sgpr_kernarg_preload_length 0
		.amdhsa_user_sgpr_kernarg_preload_offset 0
		.amdhsa_user_sgpr_private_segment_size 0
		.amdhsa_uses_dynamic_stack 0
		.amdhsa_system_sgpr_private_segment_wavefront_offset 0
		.amdhsa_system_sgpr_workgroup_id_x 1
		.amdhsa_system_sgpr_workgroup_id_y 0
		.amdhsa_system_sgpr_workgroup_id_z 0
		.amdhsa_system_sgpr_workgroup_info 0
		.amdhsa_system_vgpr_workitem_id 0
		.amdhsa_next_free_vgpr 18
		.amdhsa_next_free_sgpr 32
		.amdhsa_accum_offset 20
		.amdhsa_reserve_vcc 1
		.amdhsa_reserve_flat_scratch 0
		.amdhsa_float_round_mode_32 0
		.amdhsa_float_round_mode_16_64 0
		.amdhsa_float_denorm_mode_32 3
		.amdhsa_float_denorm_mode_16_64 3
		.amdhsa_dx10_clamp 1
		.amdhsa_ieee_mode 1
		.amdhsa_fp16_overflow 0
		.amdhsa_tg_split 0
		.amdhsa_exception_fp_ieee_invalid_op 0
		.amdhsa_exception_fp_denorm_src 0
		.amdhsa_exception_fp_ieee_div_zero 0
		.amdhsa_exception_fp_ieee_overflow 0
		.amdhsa_exception_fp_ieee_underflow 0
		.amdhsa_exception_fp_ieee_inexact 0
		.amdhsa_exception_int_div_zero 0
	.end_amdhsa_kernel
	.section	.text._ZN2at6native12_GLOBAL__N_130reflection_pad1d_backward_flatIN3c108BFloat16EEEvPT_PKS5_llll,"axG",@progbits,_ZN2at6native12_GLOBAL__N_130reflection_pad1d_backward_flatIN3c108BFloat16EEEvPT_PKS5_llll,comdat
.Lfunc_end56:
	.size	_ZN2at6native12_GLOBAL__N_130reflection_pad1d_backward_flatIN3c108BFloat16EEEvPT_PKS5_llll, .Lfunc_end56-_ZN2at6native12_GLOBAL__N_130reflection_pad1d_backward_flatIN3c108BFloat16EEEvPT_PKS5_llll
                                        ; -- End function
	.section	.AMDGPU.csdata,"",@progbits
; Kernel info:
; codeLenInByte = 2208
; NumSgprs: 36
; NumVgprs: 18
; NumAgprs: 0
; TotalNumVgprs: 18
; ScratchSize: 0
; MemoryBound: 0
; FloatMode: 240
; IeeeMode: 1
; LDSByteSize: 0 bytes/workgroup (compile time only)
; SGPRBlocks: 4
; VGPRBlocks: 2
; NumSGPRsForWavesPerEU: 36
; NumVGPRsForWavesPerEU: 18
; AccumOffset: 20
; Occupancy: 8
; WaveLimiterHint : 0
; COMPUTE_PGM_RSRC2:SCRATCH_EN: 0
; COMPUTE_PGM_RSRC2:USER_SGPR: 6
; COMPUTE_PGM_RSRC2:TRAP_HANDLER: 0
; COMPUTE_PGM_RSRC2:TGID_X_EN: 1
; COMPUTE_PGM_RSRC2:TGID_Y_EN: 0
; COMPUTE_PGM_RSRC2:TGID_Z_EN: 0
; COMPUTE_PGM_RSRC2:TIDIG_COMP_CNT: 0
; COMPUTE_PGM_RSRC3_GFX90A:ACCUM_OFFSET: 4
; COMPUTE_PGM_RSRC3_GFX90A:TG_SPLIT: 0
	.section	.text._ZN2at6native12_GLOBAL__N_127reflection_pad3d_out_kernelIhEEvN5torch10headeronly6detail27GenericPackedTensorAccessorINS5_14TensorAccessorIN3c108ArrayRefIlEEKT_Lm4ENS4_16DefaultPtrTraitsElEENS_6detail16IndexBoundsCheckILm5ElEESC_Lm5ESD_lEENS6_INS7_ISA_SB_Lm4ESD_lEESH_SB_Lm5ESD_lEElllll,"axG",@progbits,_ZN2at6native12_GLOBAL__N_127reflection_pad3d_out_kernelIhEEvN5torch10headeronly6detail27GenericPackedTensorAccessorINS5_14TensorAccessorIN3c108ArrayRefIlEEKT_Lm4ENS4_16DefaultPtrTraitsElEENS_6detail16IndexBoundsCheckILm5ElEESC_Lm5ESD_lEENS6_INS7_ISA_SB_Lm4ESD_lEESH_SB_Lm5ESD_lEElllll,comdat
	.globl	_ZN2at6native12_GLOBAL__N_127reflection_pad3d_out_kernelIhEEvN5torch10headeronly6detail27GenericPackedTensorAccessorINS5_14TensorAccessorIN3c108ArrayRefIlEEKT_Lm4ENS4_16DefaultPtrTraitsElEENS_6detail16IndexBoundsCheckILm5ElEESC_Lm5ESD_lEENS6_INS7_ISA_SB_Lm4ESD_lEESH_SB_Lm5ESD_lEElllll ; -- Begin function _ZN2at6native12_GLOBAL__N_127reflection_pad3d_out_kernelIhEEvN5torch10headeronly6detail27GenericPackedTensorAccessorINS5_14TensorAccessorIN3c108ArrayRefIlEEKT_Lm4ENS4_16DefaultPtrTraitsElEENS_6detail16IndexBoundsCheckILm5ElEESC_Lm5ESD_lEENS6_INS7_ISA_SB_Lm4ESD_lEESH_SB_Lm5ESD_lEElllll
	.p2align	8
	.type	_ZN2at6native12_GLOBAL__N_127reflection_pad3d_out_kernelIhEEvN5torch10headeronly6detail27GenericPackedTensorAccessorINS5_14TensorAccessorIN3c108ArrayRefIlEEKT_Lm4ENS4_16DefaultPtrTraitsElEENS_6detail16IndexBoundsCheckILm5ElEESC_Lm5ESD_lEENS6_INS7_ISA_SB_Lm4ESD_lEESH_SB_Lm5ESD_lEElllll,@function
_ZN2at6native12_GLOBAL__N_127reflection_pad3d_out_kernelIhEEvN5torch10headeronly6detail27GenericPackedTensorAccessorINS5_14TensorAccessorIN3c108ArrayRefIlEEKT_Lm4ENS4_16DefaultPtrTraitsElEENS_6detail16IndexBoundsCheckILm5ElEESC_Lm5ESD_lEENS6_INS7_ISA_SB_Lm4ESD_lEESH_SB_Lm5ESD_lEElllll: ; @_ZN2at6native12_GLOBAL__N_127reflection_pad3d_out_kernelIhEEvN5torch10headeronly6detail27GenericPackedTensorAccessorINS5_14TensorAccessorIN3c108ArrayRefIlEEKT_Lm4ENS4_16DefaultPtrTraitsElEENS_6detail16IndexBoundsCheckILm5ElEESC_Lm5ESD_lEENS6_INS7_ISA_SB_Lm4ESD_lEESH_SB_Lm5ESD_lEElllll
; %bb.0:
	s_load_dword s0, s[4:5], 0xe4
	s_load_dwordx4 s[12:15], s[4:5], 0x70
	s_load_dwordx2 s[10:11], s[4:5], 0x80
	v_mov_b32_e32 v2, 0
	v_mov_b32_e32 v1, v2
	s_waitcnt lgkmcnt(0)
	s_and_b32 s0, s0, 0xffff
	v_mov_b32_e32 v3, s6
	v_mad_u64_u32 v[0:1], s[0:1], s0, v3, v[0:1]
	s_mul_i32 s0, s10, s15
	s_mul_hi_u32 s1, s10, s14
	s_add_i32 s9, s1, s0
	s_mul_i32 s0, s11, s14
	s_mul_i32 s6, s10, s14
	s_add_i32 s9, s9, s0
	s_mul_i32 s0, s6, s13
	s_mul_hi_u32 s1, s6, s12
	s_add_i32 s0, s1, s0
	s_mul_i32 s1, s9, s12
	s_add_i32 s1, s0, s1
	s_mul_i32 s0, s6, s12
	v_cmp_gt_i64_e32 vcc, s[0:1], v[0:1]
	s_and_saveexec_b64 s[0:1], vcc
	s_cbranch_execz .LBB57_14
; %bb.1:
	v_or_b32_e32 v3, s11, v1
	v_cmp_ne_u64_e32 vcc, 0, v[2:3]
                                        ; implicit-def: $vgpr4_vgpr5
	s_and_saveexec_b64 s[0:1], vcc
	s_xor_b64 s[2:3], exec, s[0:1]
	s_cbranch_execz .LBB57_3
; %bb.2:
	s_ashr_i32 s12, s11, 31
	s_add_u32 s0, s10, s12
	s_mov_b32 s13, s12
	s_addc_u32 s1, s11, s12
	s_xor_b64 s[16:17], s[0:1], s[12:13]
	v_cvt_f32_u32_e32 v2, s16
	v_cvt_f32_u32_e32 v3, s17
	s_sub_u32 s0, 0, s16
	s_subb_u32 s1, 0, s17
	v_madmk_f32 v2, v3, 0x4f800000, v2
	v_rcp_f32_e32 v2, v2
	v_mul_f32_e32 v2, 0x5f7ffffc, v2
	v_mul_f32_e32 v3, 0x2f800000, v2
	v_trunc_f32_e32 v3, v3
	v_madmk_f32 v2, v3, 0xcf800000, v2
	v_cvt_u32_f32_e32 v3, v3
	v_cvt_u32_f32_e32 v2, v2
	v_mul_lo_u32 v4, s0, v3
	v_mul_hi_u32 v6, s0, v2
	v_mul_lo_u32 v5, s1, v2
	v_add_u32_e32 v4, v6, v4
	v_mul_lo_u32 v7, s0, v2
	v_add_u32_e32 v4, v4, v5
	v_mul_lo_u32 v6, v2, v4
	v_mul_hi_u32 v8, v2, v7
	v_mul_hi_u32 v5, v2, v4
	v_add_co_u32_e32 v6, vcc, v8, v6
	v_addc_co_u32_e32 v5, vcc, 0, v5, vcc
	v_mul_hi_u32 v9, v3, v7
	v_mul_lo_u32 v7, v3, v7
	v_add_co_u32_e32 v6, vcc, v6, v7
	v_mul_hi_u32 v8, v3, v4
	v_addc_co_u32_e32 v5, vcc, v5, v9, vcc
	v_addc_co_u32_e32 v6, vcc, 0, v8, vcc
	v_mul_lo_u32 v4, v3, v4
	v_add_co_u32_e32 v4, vcc, v5, v4
	v_addc_co_u32_e32 v5, vcc, 0, v6, vcc
	v_add_co_u32_e32 v2, vcc, v2, v4
	v_addc_co_u32_e32 v3, vcc, v3, v5, vcc
	v_mul_lo_u32 v4, s0, v3
	v_mul_hi_u32 v5, s0, v2
	v_add_u32_e32 v4, v5, v4
	v_mul_lo_u32 v5, s1, v2
	v_add_u32_e32 v4, v4, v5
	v_mul_lo_u32 v6, s0, v2
	v_mul_hi_u32 v7, v3, v6
	v_mul_lo_u32 v8, v3, v6
	v_mul_lo_u32 v10, v2, v4
	v_mul_hi_u32 v6, v2, v6
	v_mul_hi_u32 v9, v2, v4
	v_add_co_u32_e32 v6, vcc, v6, v10
	v_addc_co_u32_e32 v9, vcc, 0, v9, vcc
	v_add_co_u32_e32 v6, vcc, v6, v8
	v_mul_hi_u32 v5, v3, v4
	v_addc_co_u32_e32 v6, vcc, v9, v7, vcc
	v_addc_co_u32_e32 v5, vcc, 0, v5, vcc
	v_mul_lo_u32 v4, v3, v4
	v_add_co_u32_e32 v4, vcc, v6, v4
	v_addc_co_u32_e32 v5, vcc, 0, v5, vcc
	v_add_co_u32_e32 v4, vcc, v2, v4
	v_addc_co_u32_e32 v5, vcc, v3, v5, vcc
	v_ashrrev_i32_e32 v6, 31, v1
	v_add_co_u32_e32 v2, vcc, v0, v6
	v_addc_co_u32_e32 v3, vcc, v1, v6, vcc
	v_xor_b32_e32 v8, v2, v6
	v_xor_b32_e32 v7, v3, v6
	v_mad_u64_u32 v[2:3], s[0:1], v8, v5, 0
	v_mul_hi_u32 v9, v8, v4
	v_add_co_u32_e32 v9, vcc, v9, v2
	v_addc_co_u32_e32 v10, vcc, 0, v3, vcc
	v_mad_u64_u32 v[2:3], s[0:1], v7, v5, 0
	v_mad_u64_u32 v[4:5], s[0:1], v7, v4, 0
	v_add_co_u32_e32 v4, vcc, v9, v4
	v_addc_co_u32_e32 v4, vcc, v10, v5, vcc
	v_addc_co_u32_e32 v3, vcc, 0, v3, vcc
	v_add_co_u32_e32 v4, vcc, v4, v2
	v_addc_co_u32_e32 v5, vcc, 0, v3, vcc
	v_mul_lo_u32 v9, s17, v4
	v_mul_lo_u32 v10, s16, v5
	v_mad_u64_u32 v[2:3], s[0:1], s16, v4, 0
	v_add3_u32 v3, v3, v10, v9
	v_sub_u32_e32 v9, v7, v3
	v_mov_b32_e32 v10, s17
	v_sub_co_u32_e32 v2, vcc, v8, v2
	v_subb_co_u32_e64 v8, s[0:1], v9, v10, vcc
	v_subrev_co_u32_e64 v9, s[0:1], s16, v2
	v_subbrev_co_u32_e64 v8, s[0:1], 0, v8, s[0:1]
	v_cmp_le_u32_e64 s[0:1], s17, v8
	v_cndmask_b32_e64 v10, 0, -1, s[0:1]
	v_cmp_le_u32_e64 s[0:1], s16, v9
	v_cndmask_b32_e64 v9, 0, -1, s[0:1]
	v_cmp_eq_u32_e64 s[0:1], s17, v8
	v_cndmask_b32_e64 v8, v10, v9, s[0:1]
	v_add_co_u32_e64 v9, s[0:1], 2, v4
	v_subb_co_u32_e32 v3, vcc, v7, v3, vcc
	v_addc_co_u32_e64 v10, s[0:1], 0, v5, s[0:1]
	v_cmp_le_u32_e32 vcc, s17, v3
	v_add_co_u32_e64 v11, s[0:1], 1, v4
	v_cndmask_b32_e64 v7, 0, -1, vcc
	v_cmp_le_u32_e32 vcc, s16, v2
	v_addc_co_u32_e64 v12, s[0:1], 0, v5, s[0:1]
	v_cndmask_b32_e64 v2, 0, -1, vcc
	v_cmp_eq_u32_e32 vcc, s17, v3
	v_cmp_ne_u32_e64 s[0:1], 0, v8
	v_cndmask_b32_e32 v2, v7, v2, vcc
	v_cndmask_b32_e64 v8, v12, v10, s[0:1]
	v_cmp_ne_u32_e32 vcc, 0, v2
	v_cndmask_b32_e64 v3, v11, v9, s[0:1]
	v_cndmask_b32_e32 v2, v5, v8, vcc
	v_cndmask_b32_e32 v3, v4, v3, vcc
	v_xor_b32_e32 v5, s12, v6
	v_xor_b32_e32 v3, v3, v5
	;; [unrolled: 1-line block ×3, first 2 shown]
	v_sub_co_u32_e32 v4, vcc, v3, v5
	v_subb_co_u32_e32 v5, vcc, v2, v5, vcc
.LBB57_3:
	s_andn2_saveexec_b64 s[0:1], s[2:3]
	s_cbranch_execz .LBB57_5
; %bb.4:
	v_cvt_f32_u32_e32 v2, s10
	s_sub_i32 s2, 0, s10
	v_rcp_iflag_f32_e32 v2, v2
	v_mul_f32_e32 v2, 0x4f7ffffe, v2
	v_cvt_u32_f32_e32 v2, v2
	v_mul_lo_u32 v3, s2, v2
	v_mul_hi_u32 v3, v2, v3
	v_add_u32_e32 v2, v2, v3
	v_mul_hi_u32 v2, v0, v2
	v_mul_lo_u32 v3, v2, s10
	v_sub_u32_e32 v3, v0, v3
	v_add_u32_e32 v4, 1, v2
	v_subrev_u32_e32 v5, s10, v3
	v_cmp_le_u32_e32 vcc, s10, v3
	v_cndmask_b32_e32 v3, v3, v5, vcc
	v_cndmask_b32_e32 v2, v2, v4, vcc
	v_add_u32_e32 v4, 1, v2
	v_cmp_le_u32_e32 vcc, s10, v3
	v_cndmask_b32_e32 v4, v2, v4, vcc
	v_mov_b32_e32 v5, 0
.LBB57_5:
	s_or_b64 exec, exec, s[0:1]
	v_or_b32_e32 v3, s15, v5
	v_mov_b32_e32 v2, 0
	v_cmp_ne_u64_e32 vcc, 0, v[2:3]
                                        ; implicit-def: $vgpr2_vgpr3
	s_and_saveexec_b64 s[0:1], vcc
	s_xor_b64 s[12:13], exec, s[0:1]
	s_cbranch_execz .LBB57_7
; %bb.6:
	s_ashr_i32 s0, s15, 31
	s_add_u32 s2, s14, s0
	s_mov_b32 s1, s0
	s_addc_u32 s3, s15, s0
	s_xor_b64 s[16:17], s[2:3], s[0:1]
	v_cvt_f32_u32_e32 v2, s16
	v_cvt_f32_u32_e32 v3, s17
	s_sub_u32 s0, 0, s16
	s_subb_u32 s1, 0, s17
	v_madmk_f32 v2, v3, 0x4f800000, v2
	v_rcp_f32_e32 v2, v2
	v_mul_f32_e32 v2, 0x5f7ffffc, v2
	v_mul_f32_e32 v3, 0x2f800000, v2
	v_trunc_f32_e32 v3, v3
	v_madmk_f32 v2, v3, 0xcf800000, v2
	v_cvt_u32_f32_e32 v3, v3
	v_cvt_u32_f32_e32 v2, v2
	v_mul_lo_u32 v6, s0, v3
	v_mul_hi_u32 v8, s0, v2
	v_mul_lo_u32 v7, s1, v2
	v_add_u32_e32 v6, v8, v6
	v_mul_lo_u32 v9, s0, v2
	v_add_u32_e32 v6, v6, v7
	v_mul_lo_u32 v8, v2, v6
	v_mul_hi_u32 v10, v2, v9
	v_mul_hi_u32 v7, v2, v6
	v_add_co_u32_e32 v8, vcc, v10, v8
	v_addc_co_u32_e32 v7, vcc, 0, v7, vcc
	v_mul_hi_u32 v11, v3, v9
	v_mul_lo_u32 v9, v3, v9
	v_add_co_u32_e32 v8, vcc, v8, v9
	v_mul_hi_u32 v10, v3, v6
	v_addc_co_u32_e32 v7, vcc, v7, v11, vcc
	v_addc_co_u32_e32 v8, vcc, 0, v10, vcc
	v_mul_lo_u32 v6, v3, v6
	v_add_co_u32_e32 v6, vcc, v7, v6
	v_addc_co_u32_e32 v7, vcc, 0, v8, vcc
	v_add_co_u32_e32 v2, vcc, v2, v6
	v_addc_co_u32_e32 v3, vcc, v3, v7, vcc
	v_mul_lo_u32 v6, s0, v3
	v_mul_hi_u32 v7, s0, v2
	v_add_u32_e32 v6, v7, v6
	v_mul_lo_u32 v7, s1, v2
	v_add_u32_e32 v6, v6, v7
	v_mul_lo_u32 v8, s0, v2
	v_mul_hi_u32 v9, v3, v8
	v_mul_lo_u32 v10, v3, v8
	v_mul_lo_u32 v12, v2, v6
	v_mul_hi_u32 v8, v2, v8
	v_mul_hi_u32 v11, v2, v6
	v_add_co_u32_e32 v8, vcc, v8, v12
	v_addc_co_u32_e32 v11, vcc, 0, v11, vcc
	v_add_co_u32_e32 v8, vcc, v8, v10
	v_mul_hi_u32 v7, v3, v6
	v_addc_co_u32_e32 v8, vcc, v11, v9, vcc
	v_addc_co_u32_e32 v7, vcc, 0, v7, vcc
	v_mul_lo_u32 v6, v3, v6
	v_add_co_u32_e32 v6, vcc, v8, v6
	v_addc_co_u32_e32 v7, vcc, 0, v7, vcc
	v_add_co_u32_e32 v6, vcc, v2, v6
	v_addc_co_u32_e32 v7, vcc, v3, v7, vcc
	v_ashrrev_i32_e32 v8, 31, v5
	v_add_co_u32_e32 v2, vcc, v4, v8
	v_addc_co_u32_e32 v3, vcc, v5, v8, vcc
	v_xor_b32_e32 v10, v2, v8
	v_xor_b32_e32 v9, v3, v8
	v_mad_u64_u32 v[2:3], s[0:1], v10, v7, 0
	v_mul_hi_u32 v11, v10, v6
	v_add_co_u32_e32 v11, vcc, v11, v2
	v_addc_co_u32_e32 v12, vcc, 0, v3, vcc
	v_mad_u64_u32 v[2:3], s[0:1], v9, v7, 0
	v_mad_u64_u32 v[6:7], s[0:1], v9, v6, 0
	v_add_co_u32_e32 v6, vcc, v11, v6
	v_addc_co_u32_e32 v6, vcc, v12, v7, vcc
	v_addc_co_u32_e32 v3, vcc, 0, v3, vcc
	v_add_co_u32_e32 v2, vcc, v6, v2
	v_addc_co_u32_e32 v3, vcc, 0, v3, vcc
	v_mul_lo_u32 v6, s17, v2
	v_mul_lo_u32 v7, s16, v3
	v_mad_u64_u32 v[2:3], s[0:1], s16, v2, 0
	v_add3_u32 v3, v3, v7, v6
	v_sub_u32_e32 v6, v9, v3
	v_mov_b32_e32 v7, s17
	v_sub_co_u32_e32 v2, vcc, v10, v2
	v_subb_co_u32_e64 v6, s[0:1], v6, v7, vcc
	v_subrev_co_u32_e64 v10, s[0:1], s16, v2
	v_subbrev_co_u32_e64 v11, s[2:3], 0, v6, s[0:1]
	v_cmp_le_u32_e64 s[2:3], s17, v11
	v_cndmask_b32_e64 v12, 0, -1, s[2:3]
	v_cmp_le_u32_e64 s[2:3], s16, v10
	v_subb_co_u32_e64 v6, s[0:1], v6, v7, s[0:1]
	v_cndmask_b32_e64 v13, 0, -1, s[2:3]
	v_cmp_eq_u32_e64 s[2:3], s17, v11
	v_subrev_co_u32_e64 v7, s[0:1], s16, v10
	v_subb_co_u32_e32 v3, vcc, v9, v3, vcc
	v_cndmask_b32_e64 v12, v12, v13, s[2:3]
	v_subbrev_co_u32_e64 v6, s[0:1], 0, v6, s[0:1]
	v_cmp_le_u32_e32 vcc, s17, v3
	v_cmp_ne_u32_e64 s[0:1], 0, v12
	v_cndmask_b32_e64 v9, 0, -1, vcc
	v_cmp_le_u32_e32 vcc, s16, v2
	v_cndmask_b32_e64 v6, v11, v6, s[0:1]
	v_cndmask_b32_e64 v11, 0, -1, vcc
	v_cmp_eq_u32_e32 vcc, s17, v3
	v_cndmask_b32_e32 v9, v9, v11, vcc
	v_cmp_ne_u32_e32 vcc, 0, v9
	v_cndmask_b32_e32 v3, v3, v6, vcc
	v_cndmask_b32_e64 v6, v10, v7, s[0:1]
	v_cndmask_b32_e32 v2, v2, v6, vcc
	v_xor_b32_e32 v2, v2, v8
	v_xor_b32_e32 v3, v3, v8
	v_sub_co_u32_e32 v2, vcc, v2, v8
	v_subb_co_u32_e32 v3, vcc, v3, v8, vcc
.LBB57_7:
	s_or_saveexec_b64 s[0:1], s[12:13]
	s_load_dwordx2 s[2:3], s[4:5], 0xa8
	s_load_dwordx8 s[36:43], s[4:5], 0x88
	s_xor_b64 exec, exec, s[0:1]
	s_cbranch_execz .LBB57_9
; %bb.8:
	v_cvt_f32_u32_e32 v2, s14
	s_sub_i32 s12, 0, s14
	v_rcp_iflag_f32_e32 v2, v2
	v_mul_f32_e32 v2, 0x4f7ffffe, v2
	v_cvt_u32_f32_e32 v2, v2
	v_mul_lo_u32 v3, s12, v2
	v_mul_hi_u32 v3, v2, v3
	v_add_u32_e32 v2, v2, v3
	v_mul_hi_u32 v2, v4, v2
	v_mul_lo_u32 v2, v2, s14
	v_sub_u32_e32 v2, v4, v2
	v_subrev_u32_e32 v3, s14, v2
	v_cmp_le_u32_e32 vcc, s14, v2
	v_cndmask_b32_e32 v2, v2, v3, vcc
	v_subrev_u32_e32 v3, s14, v2
	v_cmp_le_u32_e32 vcc, s14, v2
	v_cndmask_b32_e32 v2, v2, v3, vcc
	v_mov_b32_e32 v3, 0
.LBB57_9:
	s_or_b64 exec, exec, s[0:1]
	s_load_dwordx2 s[28:29], s[4:5], 0x58
	s_load_dwordx2 s[30:31], s[4:5], 0x0
	v_or_b32_e32 v7, s9, v1
	v_mov_b32_e32 v6, 0
	v_cmp_ne_u64_e32 vcc, 0, v[6:7]
                                        ; implicit-def: $vgpr6_vgpr7
	s_and_saveexec_b64 s[0:1], vcc
	s_xor_b64 s[12:13], exec, s[0:1]
	s_cbranch_execz .LBB57_11
; %bb.10:
	s_ashr_i32 s14, s9, 31
	s_add_u32 s0, s6, s14
	s_mov_b32 s15, s14
	s_addc_u32 s1, s9, s14
	s_xor_b64 s[16:17], s[0:1], s[14:15]
	v_cvt_f32_u32_e32 v6, s16
	v_cvt_f32_u32_e32 v7, s17
	s_sub_u32 s0, 0, s16
	s_subb_u32 s1, 0, s17
	v_madmk_f32 v6, v7, 0x4f800000, v6
	v_rcp_f32_e32 v6, v6
	v_mul_f32_e32 v6, 0x5f7ffffc, v6
	v_mul_f32_e32 v7, 0x2f800000, v6
	v_trunc_f32_e32 v7, v7
	v_madmk_f32 v6, v7, 0xcf800000, v6
	v_cvt_u32_f32_e32 v7, v7
	v_cvt_u32_f32_e32 v6, v6
	v_mul_lo_u32 v8, s0, v7
	v_mul_hi_u32 v10, s0, v6
	v_mul_lo_u32 v9, s1, v6
	v_add_u32_e32 v8, v10, v8
	v_mul_lo_u32 v11, s0, v6
	v_add_u32_e32 v8, v8, v9
	v_mul_lo_u32 v10, v6, v8
	v_mul_hi_u32 v12, v6, v11
	v_mul_hi_u32 v9, v6, v8
	v_add_co_u32_e32 v10, vcc, v12, v10
	v_addc_co_u32_e32 v9, vcc, 0, v9, vcc
	v_mul_hi_u32 v13, v7, v11
	v_mul_lo_u32 v11, v7, v11
	v_add_co_u32_e32 v10, vcc, v10, v11
	v_mul_hi_u32 v12, v7, v8
	v_addc_co_u32_e32 v9, vcc, v9, v13, vcc
	v_addc_co_u32_e32 v10, vcc, 0, v12, vcc
	v_mul_lo_u32 v8, v7, v8
	v_add_co_u32_e32 v8, vcc, v9, v8
	v_addc_co_u32_e32 v9, vcc, 0, v10, vcc
	v_add_co_u32_e32 v6, vcc, v6, v8
	v_addc_co_u32_e32 v7, vcc, v7, v9, vcc
	v_mul_lo_u32 v8, s0, v7
	v_mul_hi_u32 v9, s0, v6
	v_add_u32_e32 v8, v9, v8
	v_mul_lo_u32 v9, s1, v6
	v_add_u32_e32 v8, v8, v9
	v_mul_lo_u32 v10, s0, v6
	v_mul_hi_u32 v11, v7, v10
	v_mul_lo_u32 v12, v7, v10
	v_mul_lo_u32 v14, v6, v8
	v_mul_hi_u32 v10, v6, v10
	v_mul_hi_u32 v13, v6, v8
	v_add_co_u32_e32 v10, vcc, v10, v14
	v_addc_co_u32_e32 v13, vcc, 0, v13, vcc
	v_add_co_u32_e32 v10, vcc, v10, v12
	v_mul_hi_u32 v9, v7, v8
	v_addc_co_u32_e32 v10, vcc, v13, v11, vcc
	v_addc_co_u32_e32 v9, vcc, 0, v9, vcc
	v_mul_lo_u32 v8, v7, v8
	v_add_co_u32_e32 v8, vcc, v10, v8
	v_addc_co_u32_e32 v9, vcc, 0, v9, vcc
	v_add_co_u32_e32 v8, vcc, v6, v8
	v_addc_co_u32_e32 v9, vcc, v7, v9, vcc
	v_ashrrev_i32_e32 v10, 31, v1
	v_add_co_u32_e32 v6, vcc, v0, v10
	v_addc_co_u32_e32 v7, vcc, v1, v10, vcc
	v_xor_b32_e32 v12, v6, v10
	v_xor_b32_e32 v11, v7, v10
	v_mad_u64_u32 v[6:7], s[0:1], v12, v9, 0
	v_mul_hi_u32 v13, v12, v8
	v_add_co_u32_e32 v13, vcc, v13, v6
	v_addc_co_u32_e32 v14, vcc, 0, v7, vcc
	v_mad_u64_u32 v[6:7], s[0:1], v11, v9, 0
	v_mad_u64_u32 v[8:9], s[0:1], v11, v8, 0
	v_add_co_u32_e32 v8, vcc, v13, v8
	v_addc_co_u32_e32 v8, vcc, v14, v9, vcc
	v_addc_co_u32_e32 v7, vcc, 0, v7, vcc
	v_add_co_u32_e32 v8, vcc, v8, v6
	v_addc_co_u32_e32 v9, vcc, 0, v7, vcc
	v_mul_lo_u32 v13, s17, v8
	v_mul_lo_u32 v14, s16, v9
	v_mad_u64_u32 v[6:7], s[0:1], s16, v8, 0
	v_add3_u32 v7, v7, v14, v13
	v_sub_u32_e32 v13, v11, v7
	v_mov_b32_e32 v14, s17
	v_sub_co_u32_e32 v6, vcc, v12, v6
	v_subb_co_u32_e64 v12, s[0:1], v13, v14, vcc
	v_subrev_co_u32_e64 v13, s[0:1], s16, v6
	v_subbrev_co_u32_e64 v12, s[0:1], 0, v12, s[0:1]
	v_cmp_le_u32_e64 s[0:1], s17, v12
	v_cndmask_b32_e64 v14, 0, -1, s[0:1]
	v_cmp_le_u32_e64 s[0:1], s16, v13
	v_cndmask_b32_e64 v13, 0, -1, s[0:1]
	v_cmp_eq_u32_e64 s[0:1], s17, v12
	v_cndmask_b32_e64 v12, v14, v13, s[0:1]
	v_add_co_u32_e64 v13, s[0:1], 2, v8
	v_subb_co_u32_e32 v7, vcc, v11, v7, vcc
	v_addc_co_u32_e64 v14, s[0:1], 0, v9, s[0:1]
	v_cmp_le_u32_e32 vcc, s17, v7
	v_add_co_u32_e64 v15, s[0:1], 1, v8
	v_cndmask_b32_e64 v11, 0, -1, vcc
	v_cmp_le_u32_e32 vcc, s16, v6
	v_addc_co_u32_e64 v16, s[0:1], 0, v9, s[0:1]
	v_cndmask_b32_e64 v6, 0, -1, vcc
	v_cmp_eq_u32_e32 vcc, s17, v7
	v_cmp_ne_u32_e64 s[0:1], 0, v12
	v_cndmask_b32_e32 v6, v11, v6, vcc
	v_cndmask_b32_e64 v12, v16, v14, s[0:1]
	v_cmp_ne_u32_e32 vcc, 0, v6
	v_cndmask_b32_e64 v7, v15, v13, s[0:1]
	v_cndmask_b32_e32 v6, v9, v12, vcc
	v_cndmask_b32_e32 v7, v8, v7, vcc
	v_xor_b32_e32 v8, s14, v10
	v_xor_b32_e32 v9, v6, v8
	;; [unrolled: 1-line block ×3, first 2 shown]
	v_sub_co_u32_e32 v6, vcc, v6, v8
	v_subb_co_u32_e32 v7, vcc, v9, v8, vcc
.LBB57_11:
	s_or_saveexec_b64 s[0:1], s[12:13]
	s_load_dwordx16 s[12:27], s[4:5], 0x18
	s_xor_b64 exec, exec, s[0:1]
	s_cbranch_execz .LBB57_13
; %bb.12:
	v_cvt_f32_u32_e32 v6, s6
	s_sub_i32 s9, 0, s6
	v_rcp_iflag_f32_e32 v6, v6
	v_mul_f32_e32 v6, 0x4f7ffffe, v6
	v_cvt_u32_f32_e32 v6, v6
	v_mul_lo_u32 v7, s9, v6
	v_mul_hi_u32 v7, v6, v7
	v_add_u32_e32 v6, v6, v7
	v_mul_hi_u32 v6, v0, v6
	v_mul_lo_u32 v7, v6, s6
	v_sub_u32_e32 v7, v0, v7
	v_add_u32_e32 v8, 1, v6
	v_subrev_u32_e32 v9, s6, v7
	v_cmp_le_u32_e32 vcc, s6, v7
	v_cndmask_b32_e32 v7, v7, v9, vcc
	v_cndmask_b32_e32 v6, v6, v8, vcc
	v_add_u32_e32 v8, 1, v6
	v_cmp_le_u32_e32 vcc, s6, v7
	v_cndmask_b32_e32 v6, v6, v8, vcc
	v_mov_b32_e32 v7, 0
.LBB57_13:
	s_or_b64 exec, exec, s[0:1]
	s_load_dwordx8 s[44:51], s[4:5], 0xb0
	v_mul_lo_u32 v8, v5, s10
	v_mul_lo_u32 v9, v4, s11
	v_mad_u64_u32 v[4:5], s[0:1], v4, s10, 0
	s_load_dwordx2 s[0:1], s[4:5], 0xd0
	s_waitcnt lgkmcnt(0)
	s_sub_u32 s4, 0, s44
	s_subb_u32 s5, 0, s45
	s_sub_u32 s10, 0, s46
	s_subb_u32 s11, 0, s47
	;; [unrolled: 2-line block ×3, first 2 shown]
	v_cmp_gt_i64_e64 s[52:53], s[4:5], 0
	s_and_b64 s[52:53], s[52:53], exec
	s_cselect_b32 s6, s5, 0
	s_cselect_b32 s9, s4, 0
	v_cmp_gt_i64_e64 s[4:5], s[44:45], 0
	s_and_b64 s[4:5], s[4:5], exec
	v_cmp_gt_i64_e64 s[4:5], s[10:11], 0
	s_cselect_b32 s53, s45, 0
	s_cselect_b32 s52, s44, 0
	s_and_b64 s[4:5], s[4:5], exec
	v_add3_u32 v5, v5, v9, v8
	v_sub_co_u32_e32 v4, vcc, v0, v4
	v_cmp_gt_i64_e64 s[4:5], s[46:47], 0
	v_subb_co_u32_e32 v5, vcc, v1, v5, vcc
	s_cselect_b32 s33, s11, 0
	s_cselect_b32 s54, s10, 0
	s_and_b64 s[4:5], s[4:5], exec
	v_cmp_gt_i64_e64 s[4:5], s[34:35], 0
	v_mov_b32_e32 v1, s45
	v_subrev_co_u32_e32 v0, vcc, s44, v4
	s_cselect_b32 s11, s47, 0
	s_cselect_b32 s10, s46, 0
	s_and_b64 s[4:5], s[4:5], exec
	v_subb_co_u32_e32 v1, vcc, v5, v1, vcc
	v_cmp_gt_i64_e64 s[4:5], s[48:49], 0
	v_ashrrev_i32_e32 v8, 31, v1
	s_cselect_b32 s55, s35, 0
	s_cselect_b32 s56, s34, 0
	s_and_b64 s[4:5], s[4:5], exec
	v_xor_b32_e32 v0, v0, v8
	s_cselect_b32 s5, s49, 0
	s_cselect_b32 s4, s48, 0
	v_xor_b32_e32 v1, v1, v8
	v_sub_co_u32_e32 v9, vcc, v0, v8
	s_add_u32 s34, s16, s44
	v_subb_co_u32_e32 v8, vcc, v1, v8, vcc
	s_addc_u32 s35, s17, s45
	v_mov_b32_e32 v1, s35
	v_subrev_co_u32_e32 v0, vcc, s34, v4
	v_subb_co_u32_e32 v1, vcc, v5, v1, vcc
	v_add_co_u32_e32 v0, vcc, 1, v0
	v_addc_co_u32_e32 v1, vcc, 0, v1, vcc
	s_lshl_b64 s[34:35], s[44:45], 1
	s_not_b64 s[44:45], s[52:53]
	v_ashrrev_i32_e32 v10, 31, v1
	s_add_u32 s34, s34, s44
	v_xor_b32_e32 v0, v0, v10
	s_addc_u32 s35, s35, s45
	v_xor_b32_e32 v1, v1, v10
	v_sub_co_u32_e32 v0, vcc, v0, v10
	s_add_u32 s9, s34, s9
	v_subb_co_u32_e32 v1, vcc, v1, v10, vcc
	s_addc_u32 s6, s35, s6
	s_add_u32 s9, s9, s16
	v_add_co_u32_e32 v0, vcc, v4, v0
	s_addc_u32 s6, s6, s17
	v_addc_co_u32_e32 v1, vcc, v5, v1, vcc
	v_mov_b32_e32 v10, s6
	v_sub_co_u32_e32 v0, vcc, s9, v0
	v_subb_co_u32_e32 v1, vcc, v10, v1, vcc
	v_add_co_u32_e32 v9, vcc, v0, v9
	v_addc_co_u32_e32 v8, vcc, v1, v8, vcc
	v_mov_b32_e32 v0, s47
	v_subrev_co_u32_e32 v1, vcc, s46, v2
	v_subb_co_u32_e32 v0, vcc, v3, v0, vcc
	v_ashrrev_i32_e32 v10, 31, v0
	v_xor_b32_e32 v1, v1, v10
	v_xor_b32_e32 v0, v0, v10
	v_sub_co_u32_e32 v1, vcc, v1, v10
	s_add_u32 s6, s14, s46
	v_subb_co_u32_e32 v0, vcc, v0, v10, vcc
	s_addc_u32 s9, s15, s47
	v_mov_b32_e32 v10, s9
	v_subrev_co_u32_e32 v11, vcc, s6, v2
	v_subb_co_u32_e32 v10, vcc, v3, v10, vcc
	v_add_co_u32_e32 v11, vcc, 1, v11
	v_addc_co_u32_e32 v10, vcc, 0, v10, vcc
	s_lshl_b64 s[16:17], s[46:47], 1
	s_not_b64 s[10:11], s[10:11]
	v_ashrrev_i32_e32 v12, 31, v10
	s_add_u32 s6, s16, s10
	v_xor_b32_e32 v11, v11, v12
	s_addc_u32 s9, s17, s11
	v_xor_b32_e32 v10, v10, v12
	v_sub_co_u32_e32 v11, vcc, v11, v12
	s_add_u32 s6, s6, s54
	v_subb_co_u32_e32 v10, vcc, v10, v12, vcc
	s_addc_u32 s9, s9, s33
	s_add_u32 s6, s6, s14
	v_add_co_u32_e32 v11, vcc, v2, v11
	s_addc_u32 s9, s9, s15
	v_addc_co_u32_e32 v10, vcc, v3, v10, vcc
	v_mov_b32_e32 v12, s9
	v_sub_co_u32_e32 v11, vcc, s6, v11
	v_subb_co_u32_e32 v10, vcc, v12, v10, vcc
	v_add_co_u32_e32 v11, vcc, v11, v1
	v_addc_co_u32_e32 v10, vcc, v10, v0, vcc
	v_mov_b32_e32 v0, s49
	v_subrev_co_u32_e32 v1, vcc, s48, v6
	v_subb_co_u32_e32 v0, vcc, v7, v0, vcc
	v_ashrrev_i32_e32 v12, 31, v0
	v_xor_b32_e32 v1, v1, v12
	v_xor_b32_e32 v0, v0, v12
	v_sub_co_u32_e32 v1, vcc, v1, v12
	s_add_u32 s6, s12, s48
	v_subb_co_u32_e32 v0, vcc, v0, v12, vcc
	s_addc_u32 s9, s13, s49
	v_mov_b32_e32 v12, s9
	v_subrev_co_u32_e32 v13, vcc, s6, v6
	v_subb_co_u32_e32 v12, vcc, v7, v12, vcc
	v_add_co_u32_e32 v13, vcc, 1, v13
	v_addc_co_u32_e32 v12, vcc, 0, v12, vcc
	s_lshl_b64 s[10:11], s[48:49], 1
	s_not_b64 s[4:5], s[4:5]
	v_ashrrev_i32_e32 v14, 31, v12
	s_add_u32 s4, s10, s4
	v_xor_b32_e32 v13, v13, v14
	s_addc_u32 s5, s11, s5
	v_xor_b32_e32 v12, v12, v14
	v_sub_co_u32_e32 v13, vcc, v13, v14
	s_add_u32 s4, s4, s56
	v_subb_co_u32_e32 v12, vcc, v12, v14, vcc
	s_addc_u32 s5, s5, s55
	s_add_u32 s4, s4, s12
	v_add_co_u32_e32 v13, vcc, v6, v13
	s_addc_u32 s5, s5, s13
	v_addc_co_u32_e32 v12, vcc, v7, v12, vcc
	v_sub_co_u32_e32 v13, vcc, s4, v13
	s_add_u32 s4, s7, s50
	v_mov_b32_e32 v14, s5
	s_addc_u32 s5, 0, s51
	s_add_u32 s6, s8, s0
	s_addc_u32 s7, 0, s1
	s_mul_i32 s0, s18, s7
	s_mul_hi_u32 s1, s18, s6
	s_add_i32 s0, s1, s0
	s_mul_i32 s1, s19, s6
	s_add_i32 s0, s0, s1
	s_mul_i32 s1, s18, s6
	s_add_u32 s1, s30, s1
	s_addc_u32 s8, s31, s0
	s_mul_i32 s0, s20, s5
	s_mul_hi_u32 s9, s20, s4
	s_add_i32 s0, s9, s0
	s_mul_i32 s9, s21, s4
	s_add_i32 s9, s0, s9
	s_mul_i32 s0, s20, s4
	v_subb_co_u32_e32 v12, vcc, v14, v12, vcc
	s_add_u32 s0, s1, s0
	v_add_co_u32_e32 v13, vcc, v13, v1
	s_addc_u32 s1, s8, s9
	v_addc_co_u32_e32 v12, vcc, v12, v0, vcc
	v_pk_mov_b32 v[0:1], s[0:1], s[0:1] op_sel:[0,1]
	v_mad_u64_u32 v[0:1], s[0:1], v13, s22, v[0:1]
	v_mul_lo_u32 v13, v13, s23
	v_mul_lo_u32 v12, v12, s22
	v_add3_u32 v1, v12, v1, v13
	v_mad_u64_u32 v[0:1], s[0:1], v11, s24, v[0:1]
	v_mul_lo_u32 v11, v11, s25
	v_mul_lo_u32 v10, v10, s24
	v_add3_u32 v1, v10, v1, v11
	;; [unrolled: 4-line block ×3, first 2 shown]
	global_load_ubyte v8, v[0:1], off
	s_mul_i32 s0, s36, s7
	s_mul_hi_u32 s1, s36, s6
	s_add_i32 s0, s1, s0
	s_mul_i32 s1, s37, s6
	s_add_i32 s0, s0, s1
	s_mul_i32 s1, s36, s6
	s_add_u32 s1, s28, s1
	s_addc_u32 s6, s29, s0
	s_mul_i32 s0, s38, s5
	s_mul_hi_u32 s5, s38, s4
	s_add_i32 s0, s5, s0
	s_mul_i32 s5, s39, s4
	s_add_i32 s5, s0, s5
	s_mul_i32 s0, s38, s4
	s_add_u32 s0, s1, s0
	s_addc_u32 s1, s6, s5
	v_pk_mov_b32 v[0:1], s[0:1], s[0:1] op_sel:[0,1]
	v_mad_u64_u32 v[0:1], s[0:1], v6, s40, v[0:1]
	v_mul_lo_u32 v6, v6, s41
	v_mul_lo_u32 v7, v7, s40
	v_add3_u32 v1, v7, v1, v6
	v_mad_u64_u32 v[0:1], s[0:1], v2, s42, v[0:1]
	v_mul_lo_u32 v2, v2, s43
	v_mul_lo_u32 v3, v3, s42
	v_add3_u32 v1, v3, v1, v2
	;; [unrolled: 4-line block ×3, first 2 shown]
	s_waitcnt vmcnt(0)
	global_store_byte v[0:1], v8, off
.LBB57_14:
	s_endpgm
	.section	.rodata,"a",@progbits
	.p2align	6, 0x0
	.amdhsa_kernel _ZN2at6native12_GLOBAL__N_127reflection_pad3d_out_kernelIhEEvN5torch10headeronly6detail27GenericPackedTensorAccessorINS5_14TensorAccessorIN3c108ArrayRefIlEEKT_Lm4ENS4_16DefaultPtrTraitsElEENS_6detail16IndexBoundsCheckILm5ElEESC_Lm5ESD_lEENS6_INS7_ISA_SB_Lm4ESD_lEESH_SB_Lm5ESD_lEElllll
		.amdhsa_group_segment_fixed_size 0
		.amdhsa_private_segment_fixed_size 0
		.amdhsa_kernarg_size 472
		.amdhsa_user_sgpr_count 6
		.amdhsa_user_sgpr_private_segment_buffer 1
		.amdhsa_user_sgpr_dispatch_ptr 0
		.amdhsa_user_sgpr_queue_ptr 0
		.amdhsa_user_sgpr_kernarg_segment_ptr 1
		.amdhsa_user_sgpr_dispatch_id 0
		.amdhsa_user_sgpr_flat_scratch_init 0
		.amdhsa_user_sgpr_kernarg_preload_length 0
		.amdhsa_user_sgpr_kernarg_preload_offset 0
		.amdhsa_user_sgpr_private_segment_size 0
		.amdhsa_uses_dynamic_stack 0
		.amdhsa_system_sgpr_private_segment_wavefront_offset 0
		.amdhsa_system_sgpr_workgroup_id_x 1
		.amdhsa_system_sgpr_workgroup_id_y 1
		.amdhsa_system_sgpr_workgroup_id_z 1
		.amdhsa_system_sgpr_workgroup_info 0
		.amdhsa_system_vgpr_workitem_id 0
		.amdhsa_next_free_vgpr 17
		.amdhsa_next_free_sgpr 57
		.amdhsa_accum_offset 20
		.amdhsa_reserve_vcc 1
		.amdhsa_reserve_flat_scratch 0
		.amdhsa_float_round_mode_32 0
		.amdhsa_float_round_mode_16_64 0
		.amdhsa_float_denorm_mode_32 3
		.amdhsa_float_denorm_mode_16_64 3
		.amdhsa_dx10_clamp 1
		.amdhsa_ieee_mode 1
		.amdhsa_fp16_overflow 0
		.amdhsa_tg_split 0
		.amdhsa_exception_fp_ieee_invalid_op 0
		.amdhsa_exception_fp_denorm_src 0
		.amdhsa_exception_fp_ieee_div_zero 0
		.amdhsa_exception_fp_ieee_overflow 0
		.amdhsa_exception_fp_ieee_underflow 0
		.amdhsa_exception_fp_ieee_inexact 0
		.amdhsa_exception_int_div_zero 0
	.end_amdhsa_kernel
	.section	.text._ZN2at6native12_GLOBAL__N_127reflection_pad3d_out_kernelIhEEvN5torch10headeronly6detail27GenericPackedTensorAccessorINS5_14TensorAccessorIN3c108ArrayRefIlEEKT_Lm4ENS4_16DefaultPtrTraitsElEENS_6detail16IndexBoundsCheckILm5ElEESC_Lm5ESD_lEENS6_INS7_ISA_SB_Lm4ESD_lEESH_SB_Lm5ESD_lEElllll,"axG",@progbits,_ZN2at6native12_GLOBAL__N_127reflection_pad3d_out_kernelIhEEvN5torch10headeronly6detail27GenericPackedTensorAccessorINS5_14TensorAccessorIN3c108ArrayRefIlEEKT_Lm4ENS4_16DefaultPtrTraitsElEENS_6detail16IndexBoundsCheckILm5ElEESC_Lm5ESD_lEENS6_INS7_ISA_SB_Lm4ESD_lEESH_SB_Lm5ESD_lEElllll,comdat
.Lfunc_end57:
	.size	_ZN2at6native12_GLOBAL__N_127reflection_pad3d_out_kernelIhEEvN5torch10headeronly6detail27GenericPackedTensorAccessorINS5_14TensorAccessorIN3c108ArrayRefIlEEKT_Lm4ENS4_16DefaultPtrTraitsElEENS_6detail16IndexBoundsCheckILm5ElEESC_Lm5ESD_lEENS6_INS7_ISA_SB_Lm4ESD_lEESH_SB_Lm5ESD_lEElllll, .Lfunc_end57-_ZN2at6native12_GLOBAL__N_127reflection_pad3d_out_kernelIhEEvN5torch10headeronly6detail27GenericPackedTensorAccessorINS5_14TensorAccessorIN3c108ArrayRefIlEEKT_Lm4ENS4_16DefaultPtrTraitsElEENS_6detail16IndexBoundsCheckILm5ElEESC_Lm5ESD_lEENS6_INS7_ISA_SB_Lm4ESD_lEESH_SB_Lm5ESD_lEElllll
                                        ; -- End function
	.section	.AMDGPU.csdata,"",@progbits
; Kernel info:
; codeLenInByte = 3576
; NumSgprs: 61
; NumVgprs: 17
; NumAgprs: 0
; TotalNumVgprs: 17
; ScratchSize: 0
; MemoryBound: 0
; FloatMode: 240
; IeeeMode: 1
; LDSByteSize: 0 bytes/workgroup (compile time only)
; SGPRBlocks: 7
; VGPRBlocks: 2
; NumSGPRsForWavesPerEU: 61
; NumVGPRsForWavesPerEU: 17
; AccumOffset: 20
; Occupancy: 8
; WaveLimiterHint : 0
; COMPUTE_PGM_RSRC2:SCRATCH_EN: 0
; COMPUTE_PGM_RSRC2:USER_SGPR: 6
; COMPUTE_PGM_RSRC2:TRAP_HANDLER: 0
; COMPUTE_PGM_RSRC2:TGID_X_EN: 1
; COMPUTE_PGM_RSRC2:TGID_Y_EN: 1
; COMPUTE_PGM_RSRC2:TGID_Z_EN: 1
; COMPUTE_PGM_RSRC2:TIDIG_COMP_CNT: 0
; COMPUTE_PGM_RSRC3_GFX90A:ACCUM_OFFSET: 4
; COMPUTE_PGM_RSRC3_GFX90A:TG_SPLIT: 0
	.section	.text._ZN2at6native12_GLOBAL__N_127reflection_pad3d_out_kernelIaEEvN5torch10headeronly6detail27GenericPackedTensorAccessorINS5_14TensorAccessorIN3c108ArrayRefIlEEKT_Lm4ENS4_16DefaultPtrTraitsElEENS_6detail16IndexBoundsCheckILm5ElEESC_Lm5ESD_lEENS6_INS7_ISA_SB_Lm4ESD_lEESH_SB_Lm5ESD_lEElllll,"axG",@progbits,_ZN2at6native12_GLOBAL__N_127reflection_pad3d_out_kernelIaEEvN5torch10headeronly6detail27GenericPackedTensorAccessorINS5_14TensorAccessorIN3c108ArrayRefIlEEKT_Lm4ENS4_16DefaultPtrTraitsElEENS_6detail16IndexBoundsCheckILm5ElEESC_Lm5ESD_lEENS6_INS7_ISA_SB_Lm4ESD_lEESH_SB_Lm5ESD_lEElllll,comdat
	.globl	_ZN2at6native12_GLOBAL__N_127reflection_pad3d_out_kernelIaEEvN5torch10headeronly6detail27GenericPackedTensorAccessorINS5_14TensorAccessorIN3c108ArrayRefIlEEKT_Lm4ENS4_16DefaultPtrTraitsElEENS_6detail16IndexBoundsCheckILm5ElEESC_Lm5ESD_lEENS6_INS7_ISA_SB_Lm4ESD_lEESH_SB_Lm5ESD_lEElllll ; -- Begin function _ZN2at6native12_GLOBAL__N_127reflection_pad3d_out_kernelIaEEvN5torch10headeronly6detail27GenericPackedTensorAccessorINS5_14TensorAccessorIN3c108ArrayRefIlEEKT_Lm4ENS4_16DefaultPtrTraitsElEENS_6detail16IndexBoundsCheckILm5ElEESC_Lm5ESD_lEENS6_INS7_ISA_SB_Lm4ESD_lEESH_SB_Lm5ESD_lEElllll
	.p2align	8
	.type	_ZN2at6native12_GLOBAL__N_127reflection_pad3d_out_kernelIaEEvN5torch10headeronly6detail27GenericPackedTensorAccessorINS5_14TensorAccessorIN3c108ArrayRefIlEEKT_Lm4ENS4_16DefaultPtrTraitsElEENS_6detail16IndexBoundsCheckILm5ElEESC_Lm5ESD_lEENS6_INS7_ISA_SB_Lm4ESD_lEESH_SB_Lm5ESD_lEElllll,@function
_ZN2at6native12_GLOBAL__N_127reflection_pad3d_out_kernelIaEEvN5torch10headeronly6detail27GenericPackedTensorAccessorINS5_14TensorAccessorIN3c108ArrayRefIlEEKT_Lm4ENS4_16DefaultPtrTraitsElEENS_6detail16IndexBoundsCheckILm5ElEESC_Lm5ESD_lEENS6_INS7_ISA_SB_Lm4ESD_lEESH_SB_Lm5ESD_lEElllll: ; @_ZN2at6native12_GLOBAL__N_127reflection_pad3d_out_kernelIaEEvN5torch10headeronly6detail27GenericPackedTensorAccessorINS5_14TensorAccessorIN3c108ArrayRefIlEEKT_Lm4ENS4_16DefaultPtrTraitsElEENS_6detail16IndexBoundsCheckILm5ElEESC_Lm5ESD_lEENS6_INS7_ISA_SB_Lm4ESD_lEESH_SB_Lm5ESD_lEElllll
; %bb.0:
	s_load_dword s0, s[4:5], 0xe4
	s_load_dwordx4 s[12:15], s[4:5], 0x70
	s_load_dwordx2 s[10:11], s[4:5], 0x80
	v_mov_b32_e32 v2, 0
	v_mov_b32_e32 v1, v2
	s_waitcnt lgkmcnt(0)
	s_and_b32 s0, s0, 0xffff
	v_mov_b32_e32 v3, s6
	v_mad_u64_u32 v[0:1], s[0:1], s0, v3, v[0:1]
	s_mul_i32 s0, s10, s15
	s_mul_hi_u32 s1, s10, s14
	s_add_i32 s9, s1, s0
	s_mul_i32 s0, s11, s14
	s_mul_i32 s6, s10, s14
	s_add_i32 s9, s9, s0
	s_mul_i32 s0, s6, s13
	s_mul_hi_u32 s1, s6, s12
	s_add_i32 s0, s1, s0
	s_mul_i32 s1, s9, s12
	s_add_i32 s1, s0, s1
	s_mul_i32 s0, s6, s12
	v_cmp_gt_i64_e32 vcc, s[0:1], v[0:1]
	s_and_saveexec_b64 s[0:1], vcc
	s_cbranch_execz .LBB58_14
; %bb.1:
	v_or_b32_e32 v3, s11, v1
	v_cmp_ne_u64_e32 vcc, 0, v[2:3]
                                        ; implicit-def: $vgpr4_vgpr5
	s_and_saveexec_b64 s[0:1], vcc
	s_xor_b64 s[2:3], exec, s[0:1]
	s_cbranch_execz .LBB58_3
; %bb.2:
	s_ashr_i32 s12, s11, 31
	s_add_u32 s0, s10, s12
	s_mov_b32 s13, s12
	s_addc_u32 s1, s11, s12
	s_xor_b64 s[16:17], s[0:1], s[12:13]
	v_cvt_f32_u32_e32 v2, s16
	v_cvt_f32_u32_e32 v3, s17
	s_sub_u32 s0, 0, s16
	s_subb_u32 s1, 0, s17
	v_madmk_f32 v2, v3, 0x4f800000, v2
	v_rcp_f32_e32 v2, v2
	v_mul_f32_e32 v2, 0x5f7ffffc, v2
	v_mul_f32_e32 v3, 0x2f800000, v2
	v_trunc_f32_e32 v3, v3
	v_madmk_f32 v2, v3, 0xcf800000, v2
	v_cvt_u32_f32_e32 v3, v3
	v_cvt_u32_f32_e32 v2, v2
	v_mul_lo_u32 v4, s0, v3
	v_mul_hi_u32 v6, s0, v2
	v_mul_lo_u32 v5, s1, v2
	v_add_u32_e32 v4, v6, v4
	v_mul_lo_u32 v7, s0, v2
	v_add_u32_e32 v4, v4, v5
	v_mul_lo_u32 v6, v2, v4
	v_mul_hi_u32 v8, v2, v7
	v_mul_hi_u32 v5, v2, v4
	v_add_co_u32_e32 v6, vcc, v8, v6
	v_addc_co_u32_e32 v5, vcc, 0, v5, vcc
	v_mul_hi_u32 v9, v3, v7
	v_mul_lo_u32 v7, v3, v7
	v_add_co_u32_e32 v6, vcc, v6, v7
	v_mul_hi_u32 v8, v3, v4
	v_addc_co_u32_e32 v5, vcc, v5, v9, vcc
	v_addc_co_u32_e32 v6, vcc, 0, v8, vcc
	v_mul_lo_u32 v4, v3, v4
	v_add_co_u32_e32 v4, vcc, v5, v4
	v_addc_co_u32_e32 v5, vcc, 0, v6, vcc
	v_add_co_u32_e32 v2, vcc, v2, v4
	v_addc_co_u32_e32 v3, vcc, v3, v5, vcc
	v_mul_lo_u32 v4, s0, v3
	v_mul_hi_u32 v5, s0, v2
	v_add_u32_e32 v4, v5, v4
	v_mul_lo_u32 v5, s1, v2
	v_add_u32_e32 v4, v4, v5
	v_mul_lo_u32 v6, s0, v2
	v_mul_hi_u32 v7, v3, v6
	v_mul_lo_u32 v8, v3, v6
	v_mul_lo_u32 v10, v2, v4
	v_mul_hi_u32 v6, v2, v6
	v_mul_hi_u32 v9, v2, v4
	v_add_co_u32_e32 v6, vcc, v6, v10
	v_addc_co_u32_e32 v9, vcc, 0, v9, vcc
	v_add_co_u32_e32 v6, vcc, v6, v8
	v_mul_hi_u32 v5, v3, v4
	v_addc_co_u32_e32 v6, vcc, v9, v7, vcc
	v_addc_co_u32_e32 v5, vcc, 0, v5, vcc
	v_mul_lo_u32 v4, v3, v4
	v_add_co_u32_e32 v4, vcc, v6, v4
	v_addc_co_u32_e32 v5, vcc, 0, v5, vcc
	v_add_co_u32_e32 v4, vcc, v2, v4
	v_addc_co_u32_e32 v5, vcc, v3, v5, vcc
	v_ashrrev_i32_e32 v6, 31, v1
	v_add_co_u32_e32 v2, vcc, v0, v6
	v_addc_co_u32_e32 v3, vcc, v1, v6, vcc
	v_xor_b32_e32 v8, v2, v6
	v_xor_b32_e32 v7, v3, v6
	v_mad_u64_u32 v[2:3], s[0:1], v8, v5, 0
	v_mul_hi_u32 v9, v8, v4
	v_add_co_u32_e32 v9, vcc, v9, v2
	v_addc_co_u32_e32 v10, vcc, 0, v3, vcc
	v_mad_u64_u32 v[2:3], s[0:1], v7, v5, 0
	v_mad_u64_u32 v[4:5], s[0:1], v7, v4, 0
	v_add_co_u32_e32 v4, vcc, v9, v4
	v_addc_co_u32_e32 v4, vcc, v10, v5, vcc
	v_addc_co_u32_e32 v3, vcc, 0, v3, vcc
	v_add_co_u32_e32 v4, vcc, v4, v2
	v_addc_co_u32_e32 v5, vcc, 0, v3, vcc
	v_mul_lo_u32 v9, s17, v4
	v_mul_lo_u32 v10, s16, v5
	v_mad_u64_u32 v[2:3], s[0:1], s16, v4, 0
	v_add3_u32 v3, v3, v10, v9
	v_sub_u32_e32 v9, v7, v3
	v_mov_b32_e32 v10, s17
	v_sub_co_u32_e32 v2, vcc, v8, v2
	v_subb_co_u32_e64 v8, s[0:1], v9, v10, vcc
	v_subrev_co_u32_e64 v9, s[0:1], s16, v2
	v_subbrev_co_u32_e64 v8, s[0:1], 0, v8, s[0:1]
	v_cmp_le_u32_e64 s[0:1], s17, v8
	v_cndmask_b32_e64 v10, 0, -1, s[0:1]
	v_cmp_le_u32_e64 s[0:1], s16, v9
	v_cndmask_b32_e64 v9, 0, -1, s[0:1]
	v_cmp_eq_u32_e64 s[0:1], s17, v8
	v_cndmask_b32_e64 v8, v10, v9, s[0:1]
	v_add_co_u32_e64 v9, s[0:1], 2, v4
	v_subb_co_u32_e32 v3, vcc, v7, v3, vcc
	v_addc_co_u32_e64 v10, s[0:1], 0, v5, s[0:1]
	v_cmp_le_u32_e32 vcc, s17, v3
	v_add_co_u32_e64 v11, s[0:1], 1, v4
	v_cndmask_b32_e64 v7, 0, -1, vcc
	v_cmp_le_u32_e32 vcc, s16, v2
	v_addc_co_u32_e64 v12, s[0:1], 0, v5, s[0:1]
	v_cndmask_b32_e64 v2, 0, -1, vcc
	v_cmp_eq_u32_e32 vcc, s17, v3
	v_cmp_ne_u32_e64 s[0:1], 0, v8
	v_cndmask_b32_e32 v2, v7, v2, vcc
	v_cndmask_b32_e64 v8, v12, v10, s[0:1]
	v_cmp_ne_u32_e32 vcc, 0, v2
	v_cndmask_b32_e64 v3, v11, v9, s[0:1]
	v_cndmask_b32_e32 v2, v5, v8, vcc
	v_cndmask_b32_e32 v3, v4, v3, vcc
	v_xor_b32_e32 v5, s12, v6
	v_xor_b32_e32 v3, v3, v5
	;; [unrolled: 1-line block ×3, first 2 shown]
	v_sub_co_u32_e32 v4, vcc, v3, v5
	v_subb_co_u32_e32 v5, vcc, v2, v5, vcc
.LBB58_3:
	s_andn2_saveexec_b64 s[0:1], s[2:3]
	s_cbranch_execz .LBB58_5
; %bb.4:
	v_cvt_f32_u32_e32 v2, s10
	s_sub_i32 s2, 0, s10
	v_rcp_iflag_f32_e32 v2, v2
	v_mul_f32_e32 v2, 0x4f7ffffe, v2
	v_cvt_u32_f32_e32 v2, v2
	v_mul_lo_u32 v3, s2, v2
	v_mul_hi_u32 v3, v2, v3
	v_add_u32_e32 v2, v2, v3
	v_mul_hi_u32 v2, v0, v2
	v_mul_lo_u32 v3, v2, s10
	v_sub_u32_e32 v3, v0, v3
	v_add_u32_e32 v4, 1, v2
	v_subrev_u32_e32 v5, s10, v3
	v_cmp_le_u32_e32 vcc, s10, v3
	v_cndmask_b32_e32 v3, v3, v5, vcc
	v_cndmask_b32_e32 v2, v2, v4, vcc
	v_add_u32_e32 v4, 1, v2
	v_cmp_le_u32_e32 vcc, s10, v3
	v_cndmask_b32_e32 v4, v2, v4, vcc
	v_mov_b32_e32 v5, 0
.LBB58_5:
	s_or_b64 exec, exec, s[0:1]
	v_or_b32_e32 v3, s15, v5
	v_mov_b32_e32 v2, 0
	v_cmp_ne_u64_e32 vcc, 0, v[2:3]
                                        ; implicit-def: $vgpr2_vgpr3
	s_and_saveexec_b64 s[0:1], vcc
	s_xor_b64 s[12:13], exec, s[0:1]
	s_cbranch_execz .LBB58_7
; %bb.6:
	s_ashr_i32 s0, s15, 31
	s_add_u32 s2, s14, s0
	s_mov_b32 s1, s0
	s_addc_u32 s3, s15, s0
	s_xor_b64 s[16:17], s[2:3], s[0:1]
	v_cvt_f32_u32_e32 v2, s16
	v_cvt_f32_u32_e32 v3, s17
	s_sub_u32 s0, 0, s16
	s_subb_u32 s1, 0, s17
	v_madmk_f32 v2, v3, 0x4f800000, v2
	v_rcp_f32_e32 v2, v2
	v_mul_f32_e32 v2, 0x5f7ffffc, v2
	v_mul_f32_e32 v3, 0x2f800000, v2
	v_trunc_f32_e32 v3, v3
	v_madmk_f32 v2, v3, 0xcf800000, v2
	v_cvt_u32_f32_e32 v3, v3
	v_cvt_u32_f32_e32 v2, v2
	v_mul_lo_u32 v6, s0, v3
	v_mul_hi_u32 v8, s0, v2
	v_mul_lo_u32 v7, s1, v2
	v_add_u32_e32 v6, v8, v6
	v_mul_lo_u32 v9, s0, v2
	v_add_u32_e32 v6, v6, v7
	v_mul_lo_u32 v8, v2, v6
	v_mul_hi_u32 v10, v2, v9
	v_mul_hi_u32 v7, v2, v6
	v_add_co_u32_e32 v8, vcc, v10, v8
	v_addc_co_u32_e32 v7, vcc, 0, v7, vcc
	v_mul_hi_u32 v11, v3, v9
	v_mul_lo_u32 v9, v3, v9
	v_add_co_u32_e32 v8, vcc, v8, v9
	v_mul_hi_u32 v10, v3, v6
	v_addc_co_u32_e32 v7, vcc, v7, v11, vcc
	v_addc_co_u32_e32 v8, vcc, 0, v10, vcc
	v_mul_lo_u32 v6, v3, v6
	v_add_co_u32_e32 v6, vcc, v7, v6
	v_addc_co_u32_e32 v7, vcc, 0, v8, vcc
	v_add_co_u32_e32 v2, vcc, v2, v6
	v_addc_co_u32_e32 v3, vcc, v3, v7, vcc
	v_mul_lo_u32 v6, s0, v3
	v_mul_hi_u32 v7, s0, v2
	v_add_u32_e32 v6, v7, v6
	v_mul_lo_u32 v7, s1, v2
	v_add_u32_e32 v6, v6, v7
	v_mul_lo_u32 v8, s0, v2
	v_mul_hi_u32 v9, v3, v8
	v_mul_lo_u32 v10, v3, v8
	v_mul_lo_u32 v12, v2, v6
	v_mul_hi_u32 v8, v2, v8
	v_mul_hi_u32 v11, v2, v6
	v_add_co_u32_e32 v8, vcc, v8, v12
	v_addc_co_u32_e32 v11, vcc, 0, v11, vcc
	v_add_co_u32_e32 v8, vcc, v8, v10
	v_mul_hi_u32 v7, v3, v6
	v_addc_co_u32_e32 v8, vcc, v11, v9, vcc
	v_addc_co_u32_e32 v7, vcc, 0, v7, vcc
	v_mul_lo_u32 v6, v3, v6
	v_add_co_u32_e32 v6, vcc, v8, v6
	v_addc_co_u32_e32 v7, vcc, 0, v7, vcc
	v_add_co_u32_e32 v6, vcc, v2, v6
	v_addc_co_u32_e32 v7, vcc, v3, v7, vcc
	v_ashrrev_i32_e32 v8, 31, v5
	v_add_co_u32_e32 v2, vcc, v4, v8
	v_addc_co_u32_e32 v3, vcc, v5, v8, vcc
	v_xor_b32_e32 v10, v2, v8
	v_xor_b32_e32 v9, v3, v8
	v_mad_u64_u32 v[2:3], s[0:1], v10, v7, 0
	v_mul_hi_u32 v11, v10, v6
	v_add_co_u32_e32 v11, vcc, v11, v2
	v_addc_co_u32_e32 v12, vcc, 0, v3, vcc
	v_mad_u64_u32 v[2:3], s[0:1], v9, v7, 0
	v_mad_u64_u32 v[6:7], s[0:1], v9, v6, 0
	v_add_co_u32_e32 v6, vcc, v11, v6
	v_addc_co_u32_e32 v6, vcc, v12, v7, vcc
	v_addc_co_u32_e32 v3, vcc, 0, v3, vcc
	v_add_co_u32_e32 v2, vcc, v6, v2
	v_addc_co_u32_e32 v3, vcc, 0, v3, vcc
	v_mul_lo_u32 v6, s17, v2
	v_mul_lo_u32 v7, s16, v3
	v_mad_u64_u32 v[2:3], s[0:1], s16, v2, 0
	v_add3_u32 v3, v3, v7, v6
	v_sub_u32_e32 v6, v9, v3
	v_mov_b32_e32 v7, s17
	v_sub_co_u32_e32 v2, vcc, v10, v2
	v_subb_co_u32_e64 v6, s[0:1], v6, v7, vcc
	v_subrev_co_u32_e64 v10, s[0:1], s16, v2
	v_subbrev_co_u32_e64 v11, s[2:3], 0, v6, s[0:1]
	v_cmp_le_u32_e64 s[2:3], s17, v11
	v_cndmask_b32_e64 v12, 0, -1, s[2:3]
	v_cmp_le_u32_e64 s[2:3], s16, v10
	v_subb_co_u32_e64 v6, s[0:1], v6, v7, s[0:1]
	v_cndmask_b32_e64 v13, 0, -1, s[2:3]
	v_cmp_eq_u32_e64 s[2:3], s17, v11
	v_subrev_co_u32_e64 v7, s[0:1], s16, v10
	v_subb_co_u32_e32 v3, vcc, v9, v3, vcc
	v_cndmask_b32_e64 v12, v12, v13, s[2:3]
	v_subbrev_co_u32_e64 v6, s[0:1], 0, v6, s[0:1]
	v_cmp_le_u32_e32 vcc, s17, v3
	v_cmp_ne_u32_e64 s[0:1], 0, v12
	v_cndmask_b32_e64 v9, 0, -1, vcc
	v_cmp_le_u32_e32 vcc, s16, v2
	v_cndmask_b32_e64 v6, v11, v6, s[0:1]
	v_cndmask_b32_e64 v11, 0, -1, vcc
	v_cmp_eq_u32_e32 vcc, s17, v3
	v_cndmask_b32_e32 v9, v9, v11, vcc
	v_cmp_ne_u32_e32 vcc, 0, v9
	v_cndmask_b32_e32 v3, v3, v6, vcc
	v_cndmask_b32_e64 v6, v10, v7, s[0:1]
	v_cndmask_b32_e32 v2, v2, v6, vcc
	v_xor_b32_e32 v2, v2, v8
	v_xor_b32_e32 v3, v3, v8
	v_sub_co_u32_e32 v2, vcc, v2, v8
	v_subb_co_u32_e32 v3, vcc, v3, v8, vcc
.LBB58_7:
	s_or_saveexec_b64 s[0:1], s[12:13]
	s_load_dwordx2 s[2:3], s[4:5], 0xa8
	s_load_dwordx8 s[36:43], s[4:5], 0x88
	s_xor_b64 exec, exec, s[0:1]
	s_cbranch_execz .LBB58_9
; %bb.8:
	v_cvt_f32_u32_e32 v2, s14
	s_sub_i32 s12, 0, s14
	v_rcp_iflag_f32_e32 v2, v2
	v_mul_f32_e32 v2, 0x4f7ffffe, v2
	v_cvt_u32_f32_e32 v2, v2
	v_mul_lo_u32 v3, s12, v2
	v_mul_hi_u32 v3, v2, v3
	v_add_u32_e32 v2, v2, v3
	v_mul_hi_u32 v2, v4, v2
	v_mul_lo_u32 v2, v2, s14
	v_sub_u32_e32 v2, v4, v2
	v_subrev_u32_e32 v3, s14, v2
	v_cmp_le_u32_e32 vcc, s14, v2
	v_cndmask_b32_e32 v2, v2, v3, vcc
	v_subrev_u32_e32 v3, s14, v2
	v_cmp_le_u32_e32 vcc, s14, v2
	v_cndmask_b32_e32 v2, v2, v3, vcc
	v_mov_b32_e32 v3, 0
.LBB58_9:
	s_or_b64 exec, exec, s[0:1]
	s_load_dwordx2 s[28:29], s[4:5], 0x58
	s_load_dwordx2 s[30:31], s[4:5], 0x0
	v_or_b32_e32 v7, s9, v1
	v_mov_b32_e32 v6, 0
	v_cmp_ne_u64_e32 vcc, 0, v[6:7]
                                        ; implicit-def: $vgpr6_vgpr7
	s_and_saveexec_b64 s[0:1], vcc
	s_xor_b64 s[12:13], exec, s[0:1]
	s_cbranch_execz .LBB58_11
; %bb.10:
	s_ashr_i32 s14, s9, 31
	s_add_u32 s0, s6, s14
	s_mov_b32 s15, s14
	s_addc_u32 s1, s9, s14
	s_xor_b64 s[16:17], s[0:1], s[14:15]
	v_cvt_f32_u32_e32 v6, s16
	v_cvt_f32_u32_e32 v7, s17
	s_sub_u32 s0, 0, s16
	s_subb_u32 s1, 0, s17
	v_madmk_f32 v6, v7, 0x4f800000, v6
	v_rcp_f32_e32 v6, v6
	v_mul_f32_e32 v6, 0x5f7ffffc, v6
	v_mul_f32_e32 v7, 0x2f800000, v6
	v_trunc_f32_e32 v7, v7
	v_madmk_f32 v6, v7, 0xcf800000, v6
	v_cvt_u32_f32_e32 v7, v7
	v_cvt_u32_f32_e32 v6, v6
	v_mul_lo_u32 v8, s0, v7
	v_mul_hi_u32 v10, s0, v6
	v_mul_lo_u32 v9, s1, v6
	v_add_u32_e32 v8, v10, v8
	v_mul_lo_u32 v11, s0, v6
	v_add_u32_e32 v8, v8, v9
	v_mul_lo_u32 v10, v6, v8
	v_mul_hi_u32 v12, v6, v11
	v_mul_hi_u32 v9, v6, v8
	v_add_co_u32_e32 v10, vcc, v12, v10
	v_addc_co_u32_e32 v9, vcc, 0, v9, vcc
	v_mul_hi_u32 v13, v7, v11
	v_mul_lo_u32 v11, v7, v11
	v_add_co_u32_e32 v10, vcc, v10, v11
	v_mul_hi_u32 v12, v7, v8
	v_addc_co_u32_e32 v9, vcc, v9, v13, vcc
	v_addc_co_u32_e32 v10, vcc, 0, v12, vcc
	v_mul_lo_u32 v8, v7, v8
	v_add_co_u32_e32 v8, vcc, v9, v8
	v_addc_co_u32_e32 v9, vcc, 0, v10, vcc
	v_add_co_u32_e32 v6, vcc, v6, v8
	v_addc_co_u32_e32 v7, vcc, v7, v9, vcc
	v_mul_lo_u32 v8, s0, v7
	v_mul_hi_u32 v9, s0, v6
	v_add_u32_e32 v8, v9, v8
	v_mul_lo_u32 v9, s1, v6
	v_add_u32_e32 v8, v8, v9
	v_mul_lo_u32 v10, s0, v6
	v_mul_hi_u32 v11, v7, v10
	v_mul_lo_u32 v12, v7, v10
	v_mul_lo_u32 v14, v6, v8
	v_mul_hi_u32 v10, v6, v10
	v_mul_hi_u32 v13, v6, v8
	v_add_co_u32_e32 v10, vcc, v10, v14
	v_addc_co_u32_e32 v13, vcc, 0, v13, vcc
	v_add_co_u32_e32 v10, vcc, v10, v12
	v_mul_hi_u32 v9, v7, v8
	v_addc_co_u32_e32 v10, vcc, v13, v11, vcc
	v_addc_co_u32_e32 v9, vcc, 0, v9, vcc
	v_mul_lo_u32 v8, v7, v8
	v_add_co_u32_e32 v8, vcc, v10, v8
	v_addc_co_u32_e32 v9, vcc, 0, v9, vcc
	v_add_co_u32_e32 v8, vcc, v6, v8
	v_addc_co_u32_e32 v9, vcc, v7, v9, vcc
	v_ashrrev_i32_e32 v10, 31, v1
	v_add_co_u32_e32 v6, vcc, v0, v10
	v_addc_co_u32_e32 v7, vcc, v1, v10, vcc
	v_xor_b32_e32 v12, v6, v10
	v_xor_b32_e32 v11, v7, v10
	v_mad_u64_u32 v[6:7], s[0:1], v12, v9, 0
	v_mul_hi_u32 v13, v12, v8
	v_add_co_u32_e32 v13, vcc, v13, v6
	v_addc_co_u32_e32 v14, vcc, 0, v7, vcc
	v_mad_u64_u32 v[6:7], s[0:1], v11, v9, 0
	v_mad_u64_u32 v[8:9], s[0:1], v11, v8, 0
	v_add_co_u32_e32 v8, vcc, v13, v8
	v_addc_co_u32_e32 v8, vcc, v14, v9, vcc
	v_addc_co_u32_e32 v7, vcc, 0, v7, vcc
	v_add_co_u32_e32 v8, vcc, v8, v6
	v_addc_co_u32_e32 v9, vcc, 0, v7, vcc
	v_mul_lo_u32 v13, s17, v8
	v_mul_lo_u32 v14, s16, v9
	v_mad_u64_u32 v[6:7], s[0:1], s16, v8, 0
	v_add3_u32 v7, v7, v14, v13
	v_sub_u32_e32 v13, v11, v7
	v_mov_b32_e32 v14, s17
	v_sub_co_u32_e32 v6, vcc, v12, v6
	v_subb_co_u32_e64 v12, s[0:1], v13, v14, vcc
	v_subrev_co_u32_e64 v13, s[0:1], s16, v6
	v_subbrev_co_u32_e64 v12, s[0:1], 0, v12, s[0:1]
	v_cmp_le_u32_e64 s[0:1], s17, v12
	v_cndmask_b32_e64 v14, 0, -1, s[0:1]
	v_cmp_le_u32_e64 s[0:1], s16, v13
	v_cndmask_b32_e64 v13, 0, -1, s[0:1]
	v_cmp_eq_u32_e64 s[0:1], s17, v12
	v_cndmask_b32_e64 v12, v14, v13, s[0:1]
	v_add_co_u32_e64 v13, s[0:1], 2, v8
	v_subb_co_u32_e32 v7, vcc, v11, v7, vcc
	v_addc_co_u32_e64 v14, s[0:1], 0, v9, s[0:1]
	v_cmp_le_u32_e32 vcc, s17, v7
	v_add_co_u32_e64 v15, s[0:1], 1, v8
	v_cndmask_b32_e64 v11, 0, -1, vcc
	v_cmp_le_u32_e32 vcc, s16, v6
	v_addc_co_u32_e64 v16, s[0:1], 0, v9, s[0:1]
	v_cndmask_b32_e64 v6, 0, -1, vcc
	v_cmp_eq_u32_e32 vcc, s17, v7
	v_cmp_ne_u32_e64 s[0:1], 0, v12
	v_cndmask_b32_e32 v6, v11, v6, vcc
	v_cndmask_b32_e64 v12, v16, v14, s[0:1]
	v_cmp_ne_u32_e32 vcc, 0, v6
	v_cndmask_b32_e64 v7, v15, v13, s[0:1]
	v_cndmask_b32_e32 v6, v9, v12, vcc
	v_cndmask_b32_e32 v7, v8, v7, vcc
	v_xor_b32_e32 v8, s14, v10
	v_xor_b32_e32 v9, v6, v8
	;; [unrolled: 1-line block ×3, first 2 shown]
	v_sub_co_u32_e32 v6, vcc, v6, v8
	v_subb_co_u32_e32 v7, vcc, v9, v8, vcc
.LBB58_11:
	s_or_saveexec_b64 s[0:1], s[12:13]
	s_load_dwordx16 s[12:27], s[4:5], 0x18
	s_xor_b64 exec, exec, s[0:1]
	s_cbranch_execz .LBB58_13
; %bb.12:
	v_cvt_f32_u32_e32 v6, s6
	s_sub_i32 s9, 0, s6
	v_rcp_iflag_f32_e32 v6, v6
	v_mul_f32_e32 v6, 0x4f7ffffe, v6
	v_cvt_u32_f32_e32 v6, v6
	v_mul_lo_u32 v7, s9, v6
	v_mul_hi_u32 v7, v6, v7
	v_add_u32_e32 v6, v6, v7
	v_mul_hi_u32 v6, v0, v6
	v_mul_lo_u32 v7, v6, s6
	v_sub_u32_e32 v7, v0, v7
	v_add_u32_e32 v8, 1, v6
	v_subrev_u32_e32 v9, s6, v7
	v_cmp_le_u32_e32 vcc, s6, v7
	v_cndmask_b32_e32 v7, v7, v9, vcc
	v_cndmask_b32_e32 v6, v6, v8, vcc
	v_add_u32_e32 v8, 1, v6
	v_cmp_le_u32_e32 vcc, s6, v7
	v_cndmask_b32_e32 v6, v6, v8, vcc
	v_mov_b32_e32 v7, 0
.LBB58_13:
	s_or_b64 exec, exec, s[0:1]
	s_load_dwordx8 s[44:51], s[4:5], 0xb0
	v_mul_lo_u32 v8, v5, s10
	v_mul_lo_u32 v9, v4, s11
	v_mad_u64_u32 v[4:5], s[0:1], v4, s10, 0
	s_load_dwordx2 s[0:1], s[4:5], 0xd0
	s_waitcnt lgkmcnt(0)
	s_sub_u32 s4, 0, s44
	s_subb_u32 s5, 0, s45
	s_sub_u32 s10, 0, s46
	s_subb_u32 s11, 0, s47
	;; [unrolled: 2-line block ×3, first 2 shown]
	v_cmp_gt_i64_e64 s[52:53], s[4:5], 0
	s_and_b64 s[52:53], s[52:53], exec
	s_cselect_b32 s6, s5, 0
	s_cselect_b32 s9, s4, 0
	v_cmp_gt_i64_e64 s[4:5], s[44:45], 0
	s_and_b64 s[4:5], s[4:5], exec
	v_cmp_gt_i64_e64 s[4:5], s[10:11], 0
	s_cselect_b32 s53, s45, 0
	s_cselect_b32 s52, s44, 0
	s_and_b64 s[4:5], s[4:5], exec
	v_add3_u32 v5, v5, v9, v8
	v_sub_co_u32_e32 v4, vcc, v0, v4
	v_cmp_gt_i64_e64 s[4:5], s[46:47], 0
	v_subb_co_u32_e32 v5, vcc, v1, v5, vcc
	s_cselect_b32 s33, s11, 0
	s_cselect_b32 s54, s10, 0
	s_and_b64 s[4:5], s[4:5], exec
	v_cmp_gt_i64_e64 s[4:5], s[34:35], 0
	v_mov_b32_e32 v1, s45
	v_subrev_co_u32_e32 v0, vcc, s44, v4
	s_cselect_b32 s11, s47, 0
	s_cselect_b32 s10, s46, 0
	s_and_b64 s[4:5], s[4:5], exec
	v_subb_co_u32_e32 v1, vcc, v5, v1, vcc
	v_cmp_gt_i64_e64 s[4:5], s[48:49], 0
	v_ashrrev_i32_e32 v8, 31, v1
	s_cselect_b32 s55, s35, 0
	s_cselect_b32 s56, s34, 0
	s_and_b64 s[4:5], s[4:5], exec
	v_xor_b32_e32 v0, v0, v8
	s_cselect_b32 s5, s49, 0
	s_cselect_b32 s4, s48, 0
	v_xor_b32_e32 v1, v1, v8
	v_sub_co_u32_e32 v9, vcc, v0, v8
	s_add_u32 s34, s16, s44
	v_subb_co_u32_e32 v8, vcc, v1, v8, vcc
	s_addc_u32 s35, s17, s45
	v_mov_b32_e32 v1, s35
	v_subrev_co_u32_e32 v0, vcc, s34, v4
	v_subb_co_u32_e32 v1, vcc, v5, v1, vcc
	v_add_co_u32_e32 v0, vcc, 1, v0
	v_addc_co_u32_e32 v1, vcc, 0, v1, vcc
	s_lshl_b64 s[34:35], s[44:45], 1
	s_not_b64 s[44:45], s[52:53]
	v_ashrrev_i32_e32 v10, 31, v1
	s_add_u32 s34, s34, s44
	v_xor_b32_e32 v0, v0, v10
	s_addc_u32 s35, s35, s45
	v_xor_b32_e32 v1, v1, v10
	v_sub_co_u32_e32 v0, vcc, v0, v10
	s_add_u32 s9, s34, s9
	v_subb_co_u32_e32 v1, vcc, v1, v10, vcc
	s_addc_u32 s6, s35, s6
	s_add_u32 s9, s9, s16
	v_add_co_u32_e32 v0, vcc, v4, v0
	s_addc_u32 s6, s6, s17
	v_addc_co_u32_e32 v1, vcc, v5, v1, vcc
	v_mov_b32_e32 v10, s6
	v_sub_co_u32_e32 v0, vcc, s9, v0
	v_subb_co_u32_e32 v1, vcc, v10, v1, vcc
	v_add_co_u32_e32 v9, vcc, v0, v9
	v_addc_co_u32_e32 v8, vcc, v1, v8, vcc
	v_mov_b32_e32 v0, s47
	v_subrev_co_u32_e32 v1, vcc, s46, v2
	v_subb_co_u32_e32 v0, vcc, v3, v0, vcc
	v_ashrrev_i32_e32 v10, 31, v0
	v_xor_b32_e32 v1, v1, v10
	v_xor_b32_e32 v0, v0, v10
	v_sub_co_u32_e32 v1, vcc, v1, v10
	s_add_u32 s6, s14, s46
	v_subb_co_u32_e32 v0, vcc, v0, v10, vcc
	s_addc_u32 s9, s15, s47
	v_mov_b32_e32 v10, s9
	v_subrev_co_u32_e32 v11, vcc, s6, v2
	v_subb_co_u32_e32 v10, vcc, v3, v10, vcc
	v_add_co_u32_e32 v11, vcc, 1, v11
	v_addc_co_u32_e32 v10, vcc, 0, v10, vcc
	s_lshl_b64 s[16:17], s[46:47], 1
	s_not_b64 s[10:11], s[10:11]
	v_ashrrev_i32_e32 v12, 31, v10
	s_add_u32 s6, s16, s10
	v_xor_b32_e32 v11, v11, v12
	s_addc_u32 s9, s17, s11
	v_xor_b32_e32 v10, v10, v12
	v_sub_co_u32_e32 v11, vcc, v11, v12
	s_add_u32 s6, s6, s54
	v_subb_co_u32_e32 v10, vcc, v10, v12, vcc
	s_addc_u32 s9, s9, s33
	s_add_u32 s6, s6, s14
	v_add_co_u32_e32 v11, vcc, v2, v11
	s_addc_u32 s9, s9, s15
	v_addc_co_u32_e32 v10, vcc, v3, v10, vcc
	v_mov_b32_e32 v12, s9
	v_sub_co_u32_e32 v11, vcc, s6, v11
	v_subb_co_u32_e32 v10, vcc, v12, v10, vcc
	v_add_co_u32_e32 v11, vcc, v11, v1
	v_addc_co_u32_e32 v10, vcc, v10, v0, vcc
	v_mov_b32_e32 v0, s49
	v_subrev_co_u32_e32 v1, vcc, s48, v6
	v_subb_co_u32_e32 v0, vcc, v7, v0, vcc
	v_ashrrev_i32_e32 v12, 31, v0
	v_xor_b32_e32 v1, v1, v12
	v_xor_b32_e32 v0, v0, v12
	v_sub_co_u32_e32 v1, vcc, v1, v12
	s_add_u32 s6, s12, s48
	v_subb_co_u32_e32 v0, vcc, v0, v12, vcc
	s_addc_u32 s9, s13, s49
	v_mov_b32_e32 v12, s9
	v_subrev_co_u32_e32 v13, vcc, s6, v6
	v_subb_co_u32_e32 v12, vcc, v7, v12, vcc
	v_add_co_u32_e32 v13, vcc, 1, v13
	v_addc_co_u32_e32 v12, vcc, 0, v12, vcc
	s_lshl_b64 s[10:11], s[48:49], 1
	s_not_b64 s[4:5], s[4:5]
	v_ashrrev_i32_e32 v14, 31, v12
	s_add_u32 s4, s10, s4
	v_xor_b32_e32 v13, v13, v14
	s_addc_u32 s5, s11, s5
	v_xor_b32_e32 v12, v12, v14
	v_sub_co_u32_e32 v13, vcc, v13, v14
	s_add_u32 s4, s4, s56
	v_subb_co_u32_e32 v12, vcc, v12, v14, vcc
	s_addc_u32 s5, s5, s55
	s_add_u32 s4, s4, s12
	v_add_co_u32_e32 v13, vcc, v6, v13
	s_addc_u32 s5, s5, s13
	v_addc_co_u32_e32 v12, vcc, v7, v12, vcc
	v_sub_co_u32_e32 v13, vcc, s4, v13
	s_add_u32 s4, s7, s50
	v_mov_b32_e32 v14, s5
	s_addc_u32 s5, 0, s51
	s_add_u32 s6, s8, s0
	s_addc_u32 s7, 0, s1
	s_mul_i32 s0, s18, s7
	s_mul_hi_u32 s1, s18, s6
	s_add_i32 s0, s1, s0
	s_mul_i32 s1, s19, s6
	s_add_i32 s0, s0, s1
	s_mul_i32 s1, s18, s6
	s_add_u32 s1, s30, s1
	s_addc_u32 s8, s31, s0
	s_mul_i32 s0, s20, s5
	s_mul_hi_u32 s9, s20, s4
	s_add_i32 s0, s9, s0
	s_mul_i32 s9, s21, s4
	s_add_i32 s9, s0, s9
	s_mul_i32 s0, s20, s4
	v_subb_co_u32_e32 v12, vcc, v14, v12, vcc
	s_add_u32 s0, s1, s0
	v_add_co_u32_e32 v13, vcc, v13, v1
	s_addc_u32 s1, s8, s9
	v_addc_co_u32_e32 v12, vcc, v12, v0, vcc
	v_pk_mov_b32 v[0:1], s[0:1], s[0:1] op_sel:[0,1]
	v_mad_u64_u32 v[0:1], s[0:1], v13, s22, v[0:1]
	v_mul_lo_u32 v13, v13, s23
	v_mul_lo_u32 v12, v12, s22
	v_add3_u32 v1, v12, v1, v13
	v_mad_u64_u32 v[0:1], s[0:1], v11, s24, v[0:1]
	v_mul_lo_u32 v11, v11, s25
	v_mul_lo_u32 v10, v10, s24
	v_add3_u32 v1, v10, v1, v11
	;; [unrolled: 4-line block ×3, first 2 shown]
	global_load_ubyte v8, v[0:1], off
	s_mul_i32 s0, s36, s7
	s_mul_hi_u32 s1, s36, s6
	s_add_i32 s0, s1, s0
	s_mul_i32 s1, s37, s6
	s_add_i32 s0, s0, s1
	s_mul_i32 s1, s36, s6
	s_add_u32 s1, s28, s1
	s_addc_u32 s6, s29, s0
	s_mul_i32 s0, s38, s5
	s_mul_hi_u32 s5, s38, s4
	s_add_i32 s0, s5, s0
	s_mul_i32 s5, s39, s4
	s_add_i32 s5, s0, s5
	s_mul_i32 s0, s38, s4
	s_add_u32 s0, s1, s0
	s_addc_u32 s1, s6, s5
	v_pk_mov_b32 v[0:1], s[0:1], s[0:1] op_sel:[0,1]
	v_mad_u64_u32 v[0:1], s[0:1], v6, s40, v[0:1]
	v_mul_lo_u32 v6, v6, s41
	v_mul_lo_u32 v7, v7, s40
	v_add3_u32 v1, v7, v1, v6
	v_mad_u64_u32 v[0:1], s[0:1], v2, s42, v[0:1]
	v_mul_lo_u32 v2, v2, s43
	v_mul_lo_u32 v3, v3, s42
	v_add3_u32 v1, v3, v1, v2
	;; [unrolled: 4-line block ×3, first 2 shown]
	s_waitcnt vmcnt(0)
	global_store_byte v[0:1], v8, off
.LBB58_14:
	s_endpgm
	.section	.rodata,"a",@progbits
	.p2align	6, 0x0
	.amdhsa_kernel _ZN2at6native12_GLOBAL__N_127reflection_pad3d_out_kernelIaEEvN5torch10headeronly6detail27GenericPackedTensorAccessorINS5_14TensorAccessorIN3c108ArrayRefIlEEKT_Lm4ENS4_16DefaultPtrTraitsElEENS_6detail16IndexBoundsCheckILm5ElEESC_Lm5ESD_lEENS6_INS7_ISA_SB_Lm4ESD_lEESH_SB_Lm5ESD_lEElllll
		.amdhsa_group_segment_fixed_size 0
		.amdhsa_private_segment_fixed_size 0
		.amdhsa_kernarg_size 472
		.amdhsa_user_sgpr_count 6
		.amdhsa_user_sgpr_private_segment_buffer 1
		.amdhsa_user_sgpr_dispatch_ptr 0
		.amdhsa_user_sgpr_queue_ptr 0
		.amdhsa_user_sgpr_kernarg_segment_ptr 1
		.amdhsa_user_sgpr_dispatch_id 0
		.amdhsa_user_sgpr_flat_scratch_init 0
		.amdhsa_user_sgpr_kernarg_preload_length 0
		.amdhsa_user_sgpr_kernarg_preload_offset 0
		.amdhsa_user_sgpr_private_segment_size 0
		.amdhsa_uses_dynamic_stack 0
		.amdhsa_system_sgpr_private_segment_wavefront_offset 0
		.amdhsa_system_sgpr_workgroup_id_x 1
		.amdhsa_system_sgpr_workgroup_id_y 1
		.amdhsa_system_sgpr_workgroup_id_z 1
		.amdhsa_system_sgpr_workgroup_info 0
		.amdhsa_system_vgpr_workitem_id 0
		.amdhsa_next_free_vgpr 17
		.amdhsa_next_free_sgpr 57
		.amdhsa_accum_offset 20
		.amdhsa_reserve_vcc 1
		.amdhsa_reserve_flat_scratch 0
		.amdhsa_float_round_mode_32 0
		.amdhsa_float_round_mode_16_64 0
		.amdhsa_float_denorm_mode_32 3
		.amdhsa_float_denorm_mode_16_64 3
		.amdhsa_dx10_clamp 1
		.amdhsa_ieee_mode 1
		.amdhsa_fp16_overflow 0
		.amdhsa_tg_split 0
		.amdhsa_exception_fp_ieee_invalid_op 0
		.amdhsa_exception_fp_denorm_src 0
		.amdhsa_exception_fp_ieee_div_zero 0
		.amdhsa_exception_fp_ieee_overflow 0
		.amdhsa_exception_fp_ieee_underflow 0
		.amdhsa_exception_fp_ieee_inexact 0
		.amdhsa_exception_int_div_zero 0
	.end_amdhsa_kernel
	.section	.text._ZN2at6native12_GLOBAL__N_127reflection_pad3d_out_kernelIaEEvN5torch10headeronly6detail27GenericPackedTensorAccessorINS5_14TensorAccessorIN3c108ArrayRefIlEEKT_Lm4ENS4_16DefaultPtrTraitsElEENS_6detail16IndexBoundsCheckILm5ElEESC_Lm5ESD_lEENS6_INS7_ISA_SB_Lm4ESD_lEESH_SB_Lm5ESD_lEElllll,"axG",@progbits,_ZN2at6native12_GLOBAL__N_127reflection_pad3d_out_kernelIaEEvN5torch10headeronly6detail27GenericPackedTensorAccessorINS5_14TensorAccessorIN3c108ArrayRefIlEEKT_Lm4ENS4_16DefaultPtrTraitsElEENS_6detail16IndexBoundsCheckILm5ElEESC_Lm5ESD_lEENS6_INS7_ISA_SB_Lm4ESD_lEESH_SB_Lm5ESD_lEElllll,comdat
.Lfunc_end58:
	.size	_ZN2at6native12_GLOBAL__N_127reflection_pad3d_out_kernelIaEEvN5torch10headeronly6detail27GenericPackedTensorAccessorINS5_14TensorAccessorIN3c108ArrayRefIlEEKT_Lm4ENS4_16DefaultPtrTraitsElEENS_6detail16IndexBoundsCheckILm5ElEESC_Lm5ESD_lEENS6_INS7_ISA_SB_Lm4ESD_lEESH_SB_Lm5ESD_lEElllll, .Lfunc_end58-_ZN2at6native12_GLOBAL__N_127reflection_pad3d_out_kernelIaEEvN5torch10headeronly6detail27GenericPackedTensorAccessorINS5_14TensorAccessorIN3c108ArrayRefIlEEKT_Lm4ENS4_16DefaultPtrTraitsElEENS_6detail16IndexBoundsCheckILm5ElEESC_Lm5ESD_lEENS6_INS7_ISA_SB_Lm4ESD_lEESH_SB_Lm5ESD_lEElllll
                                        ; -- End function
	.section	.AMDGPU.csdata,"",@progbits
; Kernel info:
; codeLenInByte = 3576
; NumSgprs: 61
; NumVgprs: 17
; NumAgprs: 0
; TotalNumVgprs: 17
; ScratchSize: 0
; MemoryBound: 0
; FloatMode: 240
; IeeeMode: 1
; LDSByteSize: 0 bytes/workgroup (compile time only)
; SGPRBlocks: 7
; VGPRBlocks: 2
; NumSGPRsForWavesPerEU: 61
; NumVGPRsForWavesPerEU: 17
; AccumOffset: 20
; Occupancy: 8
; WaveLimiterHint : 0
; COMPUTE_PGM_RSRC2:SCRATCH_EN: 0
; COMPUTE_PGM_RSRC2:USER_SGPR: 6
; COMPUTE_PGM_RSRC2:TRAP_HANDLER: 0
; COMPUTE_PGM_RSRC2:TGID_X_EN: 1
; COMPUTE_PGM_RSRC2:TGID_Y_EN: 1
; COMPUTE_PGM_RSRC2:TGID_Z_EN: 1
; COMPUTE_PGM_RSRC2:TIDIG_COMP_CNT: 0
; COMPUTE_PGM_RSRC3_GFX90A:ACCUM_OFFSET: 4
; COMPUTE_PGM_RSRC3_GFX90A:TG_SPLIT: 0
	.section	.text._ZN2at6native12_GLOBAL__N_127reflection_pad3d_out_kernelIiEEvN5torch10headeronly6detail27GenericPackedTensorAccessorINS5_14TensorAccessorIN3c108ArrayRefIlEEKT_Lm4ENS4_16DefaultPtrTraitsElEENS_6detail16IndexBoundsCheckILm5ElEESC_Lm5ESD_lEENS6_INS7_ISA_SB_Lm4ESD_lEESH_SB_Lm5ESD_lEElllll,"axG",@progbits,_ZN2at6native12_GLOBAL__N_127reflection_pad3d_out_kernelIiEEvN5torch10headeronly6detail27GenericPackedTensorAccessorINS5_14TensorAccessorIN3c108ArrayRefIlEEKT_Lm4ENS4_16DefaultPtrTraitsElEENS_6detail16IndexBoundsCheckILm5ElEESC_Lm5ESD_lEENS6_INS7_ISA_SB_Lm4ESD_lEESH_SB_Lm5ESD_lEElllll,comdat
	.globl	_ZN2at6native12_GLOBAL__N_127reflection_pad3d_out_kernelIiEEvN5torch10headeronly6detail27GenericPackedTensorAccessorINS5_14TensorAccessorIN3c108ArrayRefIlEEKT_Lm4ENS4_16DefaultPtrTraitsElEENS_6detail16IndexBoundsCheckILm5ElEESC_Lm5ESD_lEENS6_INS7_ISA_SB_Lm4ESD_lEESH_SB_Lm5ESD_lEElllll ; -- Begin function _ZN2at6native12_GLOBAL__N_127reflection_pad3d_out_kernelIiEEvN5torch10headeronly6detail27GenericPackedTensorAccessorINS5_14TensorAccessorIN3c108ArrayRefIlEEKT_Lm4ENS4_16DefaultPtrTraitsElEENS_6detail16IndexBoundsCheckILm5ElEESC_Lm5ESD_lEENS6_INS7_ISA_SB_Lm4ESD_lEESH_SB_Lm5ESD_lEElllll
	.p2align	8
	.type	_ZN2at6native12_GLOBAL__N_127reflection_pad3d_out_kernelIiEEvN5torch10headeronly6detail27GenericPackedTensorAccessorINS5_14TensorAccessorIN3c108ArrayRefIlEEKT_Lm4ENS4_16DefaultPtrTraitsElEENS_6detail16IndexBoundsCheckILm5ElEESC_Lm5ESD_lEENS6_INS7_ISA_SB_Lm4ESD_lEESH_SB_Lm5ESD_lEElllll,@function
_ZN2at6native12_GLOBAL__N_127reflection_pad3d_out_kernelIiEEvN5torch10headeronly6detail27GenericPackedTensorAccessorINS5_14TensorAccessorIN3c108ArrayRefIlEEKT_Lm4ENS4_16DefaultPtrTraitsElEENS_6detail16IndexBoundsCheckILm5ElEESC_Lm5ESD_lEENS6_INS7_ISA_SB_Lm4ESD_lEESH_SB_Lm5ESD_lEElllll: ; @_ZN2at6native12_GLOBAL__N_127reflection_pad3d_out_kernelIiEEvN5torch10headeronly6detail27GenericPackedTensorAccessorINS5_14TensorAccessorIN3c108ArrayRefIlEEKT_Lm4ENS4_16DefaultPtrTraitsElEENS_6detail16IndexBoundsCheckILm5ElEESC_Lm5ESD_lEENS6_INS7_ISA_SB_Lm4ESD_lEESH_SB_Lm5ESD_lEElllll
; %bb.0:
	s_load_dword s0, s[4:5], 0xe4
	s_load_dwordx4 s[12:15], s[4:5], 0x70
	s_load_dwordx2 s[10:11], s[4:5], 0x80
	v_mov_b32_e32 v2, 0
	v_mov_b32_e32 v1, v2
	s_waitcnt lgkmcnt(0)
	s_and_b32 s0, s0, 0xffff
	v_mov_b32_e32 v3, s6
	v_mad_u64_u32 v[0:1], s[0:1], s0, v3, v[0:1]
	s_mul_i32 s0, s10, s15
	s_mul_hi_u32 s1, s10, s14
	s_add_i32 s9, s1, s0
	s_mul_i32 s0, s11, s14
	s_mul_i32 s6, s10, s14
	s_add_i32 s9, s9, s0
	s_mul_i32 s0, s6, s13
	s_mul_hi_u32 s1, s6, s12
	s_add_i32 s0, s1, s0
	s_mul_i32 s1, s9, s12
	s_add_i32 s1, s0, s1
	s_mul_i32 s0, s6, s12
	v_cmp_gt_i64_e32 vcc, s[0:1], v[0:1]
	s_and_saveexec_b64 s[0:1], vcc
	s_cbranch_execz .LBB59_14
; %bb.1:
	v_or_b32_e32 v3, s11, v1
	v_cmp_ne_u64_e32 vcc, 0, v[2:3]
                                        ; implicit-def: $vgpr4_vgpr5
	s_and_saveexec_b64 s[0:1], vcc
	s_xor_b64 s[2:3], exec, s[0:1]
	s_cbranch_execz .LBB59_3
; %bb.2:
	s_ashr_i32 s12, s11, 31
	s_add_u32 s0, s10, s12
	s_mov_b32 s13, s12
	s_addc_u32 s1, s11, s12
	s_xor_b64 s[16:17], s[0:1], s[12:13]
	v_cvt_f32_u32_e32 v2, s16
	v_cvt_f32_u32_e32 v3, s17
	s_sub_u32 s0, 0, s16
	s_subb_u32 s1, 0, s17
	v_madmk_f32 v2, v3, 0x4f800000, v2
	v_rcp_f32_e32 v2, v2
	v_mul_f32_e32 v2, 0x5f7ffffc, v2
	v_mul_f32_e32 v3, 0x2f800000, v2
	v_trunc_f32_e32 v3, v3
	v_madmk_f32 v2, v3, 0xcf800000, v2
	v_cvt_u32_f32_e32 v3, v3
	v_cvt_u32_f32_e32 v2, v2
	v_mul_lo_u32 v4, s0, v3
	v_mul_hi_u32 v6, s0, v2
	v_mul_lo_u32 v5, s1, v2
	v_add_u32_e32 v4, v6, v4
	v_mul_lo_u32 v7, s0, v2
	v_add_u32_e32 v4, v4, v5
	v_mul_lo_u32 v6, v2, v4
	v_mul_hi_u32 v8, v2, v7
	v_mul_hi_u32 v5, v2, v4
	v_add_co_u32_e32 v6, vcc, v8, v6
	v_addc_co_u32_e32 v5, vcc, 0, v5, vcc
	v_mul_hi_u32 v9, v3, v7
	v_mul_lo_u32 v7, v3, v7
	v_add_co_u32_e32 v6, vcc, v6, v7
	v_mul_hi_u32 v8, v3, v4
	v_addc_co_u32_e32 v5, vcc, v5, v9, vcc
	v_addc_co_u32_e32 v6, vcc, 0, v8, vcc
	v_mul_lo_u32 v4, v3, v4
	v_add_co_u32_e32 v4, vcc, v5, v4
	v_addc_co_u32_e32 v5, vcc, 0, v6, vcc
	v_add_co_u32_e32 v2, vcc, v2, v4
	v_addc_co_u32_e32 v3, vcc, v3, v5, vcc
	v_mul_lo_u32 v4, s0, v3
	v_mul_hi_u32 v5, s0, v2
	v_add_u32_e32 v4, v5, v4
	v_mul_lo_u32 v5, s1, v2
	v_add_u32_e32 v4, v4, v5
	v_mul_lo_u32 v6, s0, v2
	v_mul_hi_u32 v7, v3, v6
	v_mul_lo_u32 v8, v3, v6
	v_mul_lo_u32 v10, v2, v4
	v_mul_hi_u32 v6, v2, v6
	v_mul_hi_u32 v9, v2, v4
	v_add_co_u32_e32 v6, vcc, v6, v10
	v_addc_co_u32_e32 v9, vcc, 0, v9, vcc
	v_add_co_u32_e32 v6, vcc, v6, v8
	v_mul_hi_u32 v5, v3, v4
	v_addc_co_u32_e32 v6, vcc, v9, v7, vcc
	v_addc_co_u32_e32 v5, vcc, 0, v5, vcc
	v_mul_lo_u32 v4, v3, v4
	v_add_co_u32_e32 v4, vcc, v6, v4
	v_addc_co_u32_e32 v5, vcc, 0, v5, vcc
	v_add_co_u32_e32 v4, vcc, v2, v4
	v_addc_co_u32_e32 v5, vcc, v3, v5, vcc
	v_ashrrev_i32_e32 v6, 31, v1
	v_add_co_u32_e32 v2, vcc, v0, v6
	v_addc_co_u32_e32 v3, vcc, v1, v6, vcc
	v_xor_b32_e32 v8, v2, v6
	v_xor_b32_e32 v7, v3, v6
	v_mad_u64_u32 v[2:3], s[0:1], v8, v5, 0
	v_mul_hi_u32 v9, v8, v4
	v_add_co_u32_e32 v9, vcc, v9, v2
	v_addc_co_u32_e32 v10, vcc, 0, v3, vcc
	v_mad_u64_u32 v[2:3], s[0:1], v7, v5, 0
	v_mad_u64_u32 v[4:5], s[0:1], v7, v4, 0
	v_add_co_u32_e32 v4, vcc, v9, v4
	v_addc_co_u32_e32 v4, vcc, v10, v5, vcc
	v_addc_co_u32_e32 v3, vcc, 0, v3, vcc
	v_add_co_u32_e32 v4, vcc, v4, v2
	v_addc_co_u32_e32 v5, vcc, 0, v3, vcc
	v_mul_lo_u32 v9, s17, v4
	v_mul_lo_u32 v10, s16, v5
	v_mad_u64_u32 v[2:3], s[0:1], s16, v4, 0
	v_add3_u32 v3, v3, v10, v9
	v_sub_u32_e32 v9, v7, v3
	v_mov_b32_e32 v10, s17
	v_sub_co_u32_e32 v2, vcc, v8, v2
	v_subb_co_u32_e64 v8, s[0:1], v9, v10, vcc
	v_subrev_co_u32_e64 v9, s[0:1], s16, v2
	v_subbrev_co_u32_e64 v8, s[0:1], 0, v8, s[0:1]
	v_cmp_le_u32_e64 s[0:1], s17, v8
	v_cndmask_b32_e64 v10, 0, -1, s[0:1]
	v_cmp_le_u32_e64 s[0:1], s16, v9
	v_cndmask_b32_e64 v9, 0, -1, s[0:1]
	v_cmp_eq_u32_e64 s[0:1], s17, v8
	v_cndmask_b32_e64 v8, v10, v9, s[0:1]
	v_add_co_u32_e64 v9, s[0:1], 2, v4
	v_subb_co_u32_e32 v3, vcc, v7, v3, vcc
	v_addc_co_u32_e64 v10, s[0:1], 0, v5, s[0:1]
	v_cmp_le_u32_e32 vcc, s17, v3
	v_add_co_u32_e64 v11, s[0:1], 1, v4
	v_cndmask_b32_e64 v7, 0, -1, vcc
	v_cmp_le_u32_e32 vcc, s16, v2
	v_addc_co_u32_e64 v12, s[0:1], 0, v5, s[0:1]
	v_cndmask_b32_e64 v2, 0, -1, vcc
	v_cmp_eq_u32_e32 vcc, s17, v3
	v_cmp_ne_u32_e64 s[0:1], 0, v8
	v_cndmask_b32_e32 v2, v7, v2, vcc
	v_cndmask_b32_e64 v8, v12, v10, s[0:1]
	v_cmp_ne_u32_e32 vcc, 0, v2
	v_cndmask_b32_e64 v3, v11, v9, s[0:1]
	v_cndmask_b32_e32 v2, v5, v8, vcc
	v_cndmask_b32_e32 v3, v4, v3, vcc
	v_xor_b32_e32 v5, s12, v6
	v_xor_b32_e32 v3, v3, v5
	;; [unrolled: 1-line block ×3, first 2 shown]
	v_sub_co_u32_e32 v4, vcc, v3, v5
	v_subb_co_u32_e32 v5, vcc, v2, v5, vcc
.LBB59_3:
	s_andn2_saveexec_b64 s[0:1], s[2:3]
	s_cbranch_execz .LBB59_5
; %bb.4:
	v_cvt_f32_u32_e32 v2, s10
	s_sub_i32 s2, 0, s10
	v_rcp_iflag_f32_e32 v2, v2
	v_mul_f32_e32 v2, 0x4f7ffffe, v2
	v_cvt_u32_f32_e32 v2, v2
	v_mul_lo_u32 v3, s2, v2
	v_mul_hi_u32 v3, v2, v3
	v_add_u32_e32 v2, v2, v3
	v_mul_hi_u32 v2, v0, v2
	v_mul_lo_u32 v3, v2, s10
	v_sub_u32_e32 v3, v0, v3
	v_add_u32_e32 v4, 1, v2
	v_subrev_u32_e32 v5, s10, v3
	v_cmp_le_u32_e32 vcc, s10, v3
	v_cndmask_b32_e32 v3, v3, v5, vcc
	v_cndmask_b32_e32 v2, v2, v4, vcc
	v_add_u32_e32 v4, 1, v2
	v_cmp_le_u32_e32 vcc, s10, v3
	v_cndmask_b32_e32 v4, v2, v4, vcc
	v_mov_b32_e32 v5, 0
.LBB59_5:
	s_or_b64 exec, exec, s[0:1]
	v_or_b32_e32 v3, s15, v5
	v_mov_b32_e32 v2, 0
	v_cmp_ne_u64_e32 vcc, 0, v[2:3]
                                        ; implicit-def: $vgpr2_vgpr3
	s_and_saveexec_b64 s[0:1], vcc
	s_xor_b64 s[12:13], exec, s[0:1]
	s_cbranch_execz .LBB59_7
; %bb.6:
	s_ashr_i32 s0, s15, 31
	s_add_u32 s2, s14, s0
	s_mov_b32 s1, s0
	s_addc_u32 s3, s15, s0
	s_xor_b64 s[16:17], s[2:3], s[0:1]
	v_cvt_f32_u32_e32 v2, s16
	v_cvt_f32_u32_e32 v3, s17
	s_sub_u32 s0, 0, s16
	s_subb_u32 s1, 0, s17
	v_madmk_f32 v2, v3, 0x4f800000, v2
	v_rcp_f32_e32 v2, v2
	v_mul_f32_e32 v2, 0x5f7ffffc, v2
	v_mul_f32_e32 v3, 0x2f800000, v2
	v_trunc_f32_e32 v3, v3
	v_madmk_f32 v2, v3, 0xcf800000, v2
	v_cvt_u32_f32_e32 v3, v3
	v_cvt_u32_f32_e32 v2, v2
	v_mul_lo_u32 v6, s0, v3
	v_mul_hi_u32 v8, s0, v2
	v_mul_lo_u32 v7, s1, v2
	v_add_u32_e32 v6, v8, v6
	v_mul_lo_u32 v9, s0, v2
	v_add_u32_e32 v6, v6, v7
	v_mul_lo_u32 v8, v2, v6
	v_mul_hi_u32 v10, v2, v9
	v_mul_hi_u32 v7, v2, v6
	v_add_co_u32_e32 v8, vcc, v10, v8
	v_addc_co_u32_e32 v7, vcc, 0, v7, vcc
	v_mul_hi_u32 v11, v3, v9
	v_mul_lo_u32 v9, v3, v9
	v_add_co_u32_e32 v8, vcc, v8, v9
	v_mul_hi_u32 v10, v3, v6
	v_addc_co_u32_e32 v7, vcc, v7, v11, vcc
	v_addc_co_u32_e32 v8, vcc, 0, v10, vcc
	v_mul_lo_u32 v6, v3, v6
	v_add_co_u32_e32 v6, vcc, v7, v6
	v_addc_co_u32_e32 v7, vcc, 0, v8, vcc
	v_add_co_u32_e32 v2, vcc, v2, v6
	v_addc_co_u32_e32 v3, vcc, v3, v7, vcc
	v_mul_lo_u32 v6, s0, v3
	v_mul_hi_u32 v7, s0, v2
	v_add_u32_e32 v6, v7, v6
	v_mul_lo_u32 v7, s1, v2
	v_add_u32_e32 v6, v6, v7
	v_mul_lo_u32 v8, s0, v2
	v_mul_hi_u32 v9, v3, v8
	v_mul_lo_u32 v10, v3, v8
	v_mul_lo_u32 v12, v2, v6
	v_mul_hi_u32 v8, v2, v8
	v_mul_hi_u32 v11, v2, v6
	v_add_co_u32_e32 v8, vcc, v8, v12
	v_addc_co_u32_e32 v11, vcc, 0, v11, vcc
	v_add_co_u32_e32 v8, vcc, v8, v10
	v_mul_hi_u32 v7, v3, v6
	v_addc_co_u32_e32 v8, vcc, v11, v9, vcc
	v_addc_co_u32_e32 v7, vcc, 0, v7, vcc
	v_mul_lo_u32 v6, v3, v6
	v_add_co_u32_e32 v6, vcc, v8, v6
	v_addc_co_u32_e32 v7, vcc, 0, v7, vcc
	v_add_co_u32_e32 v6, vcc, v2, v6
	v_addc_co_u32_e32 v7, vcc, v3, v7, vcc
	v_ashrrev_i32_e32 v8, 31, v5
	v_add_co_u32_e32 v2, vcc, v4, v8
	v_addc_co_u32_e32 v3, vcc, v5, v8, vcc
	v_xor_b32_e32 v10, v2, v8
	v_xor_b32_e32 v9, v3, v8
	v_mad_u64_u32 v[2:3], s[0:1], v10, v7, 0
	v_mul_hi_u32 v11, v10, v6
	v_add_co_u32_e32 v11, vcc, v11, v2
	v_addc_co_u32_e32 v12, vcc, 0, v3, vcc
	v_mad_u64_u32 v[2:3], s[0:1], v9, v7, 0
	v_mad_u64_u32 v[6:7], s[0:1], v9, v6, 0
	v_add_co_u32_e32 v6, vcc, v11, v6
	v_addc_co_u32_e32 v6, vcc, v12, v7, vcc
	v_addc_co_u32_e32 v3, vcc, 0, v3, vcc
	v_add_co_u32_e32 v2, vcc, v6, v2
	v_addc_co_u32_e32 v3, vcc, 0, v3, vcc
	v_mul_lo_u32 v6, s17, v2
	v_mul_lo_u32 v7, s16, v3
	v_mad_u64_u32 v[2:3], s[0:1], s16, v2, 0
	v_add3_u32 v3, v3, v7, v6
	v_sub_u32_e32 v6, v9, v3
	v_mov_b32_e32 v7, s17
	v_sub_co_u32_e32 v2, vcc, v10, v2
	v_subb_co_u32_e64 v6, s[0:1], v6, v7, vcc
	v_subrev_co_u32_e64 v10, s[0:1], s16, v2
	v_subbrev_co_u32_e64 v11, s[2:3], 0, v6, s[0:1]
	v_cmp_le_u32_e64 s[2:3], s17, v11
	v_cndmask_b32_e64 v12, 0, -1, s[2:3]
	v_cmp_le_u32_e64 s[2:3], s16, v10
	v_subb_co_u32_e64 v6, s[0:1], v6, v7, s[0:1]
	v_cndmask_b32_e64 v13, 0, -1, s[2:3]
	v_cmp_eq_u32_e64 s[2:3], s17, v11
	v_subrev_co_u32_e64 v7, s[0:1], s16, v10
	v_subb_co_u32_e32 v3, vcc, v9, v3, vcc
	v_cndmask_b32_e64 v12, v12, v13, s[2:3]
	v_subbrev_co_u32_e64 v6, s[0:1], 0, v6, s[0:1]
	v_cmp_le_u32_e32 vcc, s17, v3
	v_cmp_ne_u32_e64 s[0:1], 0, v12
	v_cndmask_b32_e64 v9, 0, -1, vcc
	v_cmp_le_u32_e32 vcc, s16, v2
	v_cndmask_b32_e64 v6, v11, v6, s[0:1]
	v_cndmask_b32_e64 v11, 0, -1, vcc
	v_cmp_eq_u32_e32 vcc, s17, v3
	v_cndmask_b32_e32 v9, v9, v11, vcc
	v_cmp_ne_u32_e32 vcc, 0, v9
	v_cndmask_b32_e32 v3, v3, v6, vcc
	v_cndmask_b32_e64 v6, v10, v7, s[0:1]
	v_cndmask_b32_e32 v2, v2, v6, vcc
	v_xor_b32_e32 v2, v2, v8
	v_xor_b32_e32 v3, v3, v8
	v_sub_co_u32_e32 v2, vcc, v2, v8
	v_subb_co_u32_e32 v3, vcc, v3, v8, vcc
.LBB59_7:
	s_or_saveexec_b64 s[0:1], s[12:13]
	s_load_dwordx2 s[2:3], s[4:5], 0xa8
	s_load_dwordx8 s[36:43], s[4:5], 0x88
	s_xor_b64 exec, exec, s[0:1]
	s_cbranch_execz .LBB59_9
; %bb.8:
	v_cvt_f32_u32_e32 v2, s14
	s_sub_i32 s12, 0, s14
	v_rcp_iflag_f32_e32 v2, v2
	v_mul_f32_e32 v2, 0x4f7ffffe, v2
	v_cvt_u32_f32_e32 v2, v2
	v_mul_lo_u32 v3, s12, v2
	v_mul_hi_u32 v3, v2, v3
	v_add_u32_e32 v2, v2, v3
	v_mul_hi_u32 v2, v4, v2
	v_mul_lo_u32 v2, v2, s14
	v_sub_u32_e32 v2, v4, v2
	v_subrev_u32_e32 v3, s14, v2
	v_cmp_le_u32_e32 vcc, s14, v2
	v_cndmask_b32_e32 v2, v2, v3, vcc
	v_subrev_u32_e32 v3, s14, v2
	v_cmp_le_u32_e32 vcc, s14, v2
	v_cndmask_b32_e32 v2, v2, v3, vcc
	v_mov_b32_e32 v3, 0
.LBB59_9:
	s_or_b64 exec, exec, s[0:1]
	s_load_dwordx2 s[28:29], s[4:5], 0x58
	s_load_dwordx2 s[30:31], s[4:5], 0x0
	v_or_b32_e32 v7, s9, v1
	v_mov_b32_e32 v6, 0
	v_cmp_ne_u64_e32 vcc, 0, v[6:7]
                                        ; implicit-def: $vgpr6_vgpr7
	s_and_saveexec_b64 s[0:1], vcc
	s_xor_b64 s[12:13], exec, s[0:1]
	s_cbranch_execz .LBB59_11
; %bb.10:
	s_ashr_i32 s14, s9, 31
	s_add_u32 s0, s6, s14
	s_mov_b32 s15, s14
	s_addc_u32 s1, s9, s14
	s_xor_b64 s[16:17], s[0:1], s[14:15]
	v_cvt_f32_u32_e32 v6, s16
	v_cvt_f32_u32_e32 v7, s17
	s_sub_u32 s0, 0, s16
	s_subb_u32 s1, 0, s17
	v_madmk_f32 v6, v7, 0x4f800000, v6
	v_rcp_f32_e32 v6, v6
	v_mul_f32_e32 v6, 0x5f7ffffc, v6
	v_mul_f32_e32 v7, 0x2f800000, v6
	v_trunc_f32_e32 v7, v7
	v_madmk_f32 v6, v7, 0xcf800000, v6
	v_cvt_u32_f32_e32 v7, v7
	v_cvt_u32_f32_e32 v6, v6
	v_mul_lo_u32 v8, s0, v7
	v_mul_hi_u32 v10, s0, v6
	v_mul_lo_u32 v9, s1, v6
	v_add_u32_e32 v8, v10, v8
	v_mul_lo_u32 v11, s0, v6
	v_add_u32_e32 v8, v8, v9
	v_mul_lo_u32 v10, v6, v8
	v_mul_hi_u32 v12, v6, v11
	v_mul_hi_u32 v9, v6, v8
	v_add_co_u32_e32 v10, vcc, v12, v10
	v_addc_co_u32_e32 v9, vcc, 0, v9, vcc
	v_mul_hi_u32 v13, v7, v11
	v_mul_lo_u32 v11, v7, v11
	v_add_co_u32_e32 v10, vcc, v10, v11
	v_mul_hi_u32 v12, v7, v8
	v_addc_co_u32_e32 v9, vcc, v9, v13, vcc
	v_addc_co_u32_e32 v10, vcc, 0, v12, vcc
	v_mul_lo_u32 v8, v7, v8
	v_add_co_u32_e32 v8, vcc, v9, v8
	v_addc_co_u32_e32 v9, vcc, 0, v10, vcc
	v_add_co_u32_e32 v6, vcc, v6, v8
	v_addc_co_u32_e32 v7, vcc, v7, v9, vcc
	v_mul_lo_u32 v8, s0, v7
	v_mul_hi_u32 v9, s0, v6
	v_add_u32_e32 v8, v9, v8
	v_mul_lo_u32 v9, s1, v6
	v_add_u32_e32 v8, v8, v9
	v_mul_lo_u32 v10, s0, v6
	v_mul_hi_u32 v11, v7, v10
	v_mul_lo_u32 v12, v7, v10
	v_mul_lo_u32 v14, v6, v8
	v_mul_hi_u32 v10, v6, v10
	v_mul_hi_u32 v13, v6, v8
	v_add_co_u32_e32 v10, vcc, v10, v14
	v_addc_co_u32_e32 v13, vcc, 0, v13, vcc
	v_add_co_u32_e32 v10, vcc, v10, v12
	v_mul_hi_u32 v9, v7, v8
	v_addc_co_u32_e32 v10, vcc, v13, v11, vcc
	v_addc_co_u32_e32 v9, vcc, 0, v9, vcc
	v_mul_lo_u32 v8, v7, v8
	v_add_co_u32_e32 v8, vcc, v10, v8
	v_addc_co_u32_e32 v9, vcc, 0, v9, vcc
	v_add_co_u32_e32 v8, vcc, v6, v8
	v_addc_co_u32_e32 v9, vcc, v7, v9, vcc
	v_ashrrev_i32_e32 v10, 31, v1
	v_add_co_u32_e32 v6, vcc, v0, v10
	v_addc_co_u32_e32 v7, vcc, v1, v10, vcc
	v_xor_b32_e32 v12, v6, v10
	v_xor_b32_e32 v11, v7, v10
	v_mad_u64_u32 v[6:7], s[0:1], v12, v9, 0
	v_mul_hi_u32 v13, v12, v8
	v_add_co_u32_e32 v13, vcc, v13, v6
	v_addc_co_u32_e32 v14, vcc, 0, v7, vcc
	v_mad_u64_u32 v[6:7], s[0:1], v11, v9, 0
	v_mad_u64_u32 v[8:9], s[0:1], v11, v8, 0
	v_add_co_u32_e32 v8, vcc, v13, v8
	v_addc_co_u32_e32 v8, vcc, v14, v9, vcc
	v_addc_co_u32_e32 v7, vcc, 0, v7, vcc
	v_add_co_u32_e32 v8, vcc, v8, v6
	v_addc_co_u32_e32 v9, vcc, 0, v7, vcc
	v_mul_lo_u32 v13, s17, v8
	v_mul_lo_u32 v14, s16, v9
	v_mad_u64_u32 v[6:7], s[0:1], s16, v8, 0
	v_add3_u32 v7, v7, v14, v13
	v_sub_u32_e32 v13, v11, v7
	v_mov_b32_e32 v14, s17
	v_sub_co_u32_e32 v6, vcc, v12, v6
	v_subb_co_u32_e64 v12, s[0:1], v13, v14, vcc
	v_subrev_co_u32_e64 v13, s[0:1], s16, v6
	v_subbrev_co_u32_e64 v12, s[0:1], 0, v12, s[0:1]
	v_cmp_le_u32_e64 s[0:1], s17, v12
	v_cndmask_b32_e64 v14, 0, -1, s[0:1]
	v_cmp_le_u32_e64 s[0:1], s16, v13
	v_cndmask_b32_e64 v13, 0, -1, s[0:1]
	v_cmp_eq_u32_e64 s[0:1], s17, v12
	v_cndmask_b32_e64 v12, v14, v13, s[0:1]
	v_add_co_u32_e64 v13, s[0:1], 2, v8
	v_subb_co_u32_e32 v7, vcc, v11, v7, vcc
	v_addc_co_u32_e64 v14, s[0:1], 0, v9, s[0:1]
	v_cmp_le_u32_e32 vcc, s17, v7
	v_add_co_u32_e64 v15, s[0:1], 1, v8
	v_cndmask_b32_e64 v11, 0, -1, vcc
	v_cmp_le_u32_e32 vcc, s16, v6
	v_addc_co_u32_e64 v16, s[0:1], 0, v9, s[0:1]
	v_cndmask_b32_e64 v6, 0, -1, vcc
	v_cmp_eq_u32_e32 vcc, s17, v7
	v_cmp_ne_u32_e64 s[0:1], 0, v12
	v_cndmask_b32_e32 v6, v11, v6, vcc
	v_cndmask_b32_e64 v12, v16, v14, s[0:1]
	v_cmp_ne_u32_e32 vcc, 0, v6
	v_cndmask_b32_e64 v7, v15, v13, s[0:1]
	v_cndmask_b32_e32 v6, v9, v12, vcc
	v_cndmask_b32_e32 v7, v8, v7, vcc
	v_xor_b32_e32 v8, s14, v10
	v_xor_b32_e32 v9, v6, v8
	;; [unrolled: 1-line block ×3, first 2 shown]
	v_sub_co_u32_e32 v6, vcc, v6, v8
	v_subb_co_u32_e32 v7, vcc, v9, v8, vcc
.LBB59_11:
	s_or_saveexec_b64 s[0:1], s[12:13]
	s_load_dwordx16 s[12:27], s[4:5], 0x18
	s_xor_b64 exec, exec, s[0:1]
	s_cbranch_execz .LBB59_13
; %bb.12:
	v_cvt_f32_u32_e32 v6, s6
	s_sub_i32 s9, 0, s6
	v_rcp_iflag_f32_e32 v6, v6
	v_mul_f32_e32 v6, 0x4f7ffffe, v6
	v_cvt_u32_f32_e32 v6, v6
	v_mul_lo_u32 v7, s9, v6
	v_mul_hi_u32 v7, v6, v7
	v_add_u32_e32 v6, v6, v7
	v_mul_hi_u32 v6, v0, v6
	v_mul_lo_u32 v7, v6, s6
	v_sub_u32_e32 v7, v0, v7
	v_add_u32_e32 v8, 1, v6
	v_subrev_u32_e32 v9, s6, v7
	v_cmp_le_u32_e32 vcc, s6, v7
	v_cndmask_b32_e32 v7, v7, v9, vcc
	v_cndmask_b32_e32 v6, v6, v8, vcc
	v_add_u32_e32 v8, 1, v6
	v_cmp_le_u32_e32 vcc, s6, v7
	v_cndmask_b32_e32 v6, v6, v8, vcc
	v_mov_b32_e32 v7, 0
.LBB59_13:
	s_or_b64 exec, exec, s[0:1]
	s_load_dwordx8 s[44:51], s[4:5], 0xb0
	v_mul_lo_u32 v8, v5, s10
	v_mul_lo_u32 v9, v4, s11
	v_mad_u64_u32 v[4:5], s[0:1], v4, s10, 0
	s_load_dwordx2 s[0:1], s[4:5], 0xd0
	s_waitcnt lgkmcnt(0)
	s_sub_u32 s4, 0, s44
	s_subb_u32 s5, 0, s45
	s_sub_u32 s10, 0, s46
	s_subb_u32 s11, 0, s47
	;; [unrolled: 2-line block ×3, first 2 shown]
	v_cmp_gt_i64_e64 s[52:53], s[4:5], 0
	s_and_b64 s[52:53], s[52:53], exec
	s_cselect_b32 s6, s5, 0
	s_cselect_b32 s9, s4, 0
	v_cmp_gt_i64_e64 s[4:5], s[44:45], 0
	s_and_b64 s[4:5], s[4:5], exec
	v_cmp_gt_i64_e64 s[4:5], s[10:11], 0
	s_cselect_b32 s53, s45, 0
	s_cselect_b32 s52, s44, 0
	s_and_b64 s[4:5], s[4:5], exec
	v_add3_u32 v5, v5, v9, v8
	v_sub_co_u32_e32 v0, vcc, v0, v4
	v_cmp_gt_i64_e64 s[4:5], s[46:47], 0
	v_subb_co_u32_e32 v1, vcc, v1, v5, vcc
	s_cselect_b32 s33, s11, 0
	s_cselect_b32 s54, s10, 0
	s_and_b64 s[4:5], s[4:5], exec
	v_cmp_gt_i64_e64 s[4:5], s[34:35], 0
	v_mov_b32_e32 v5, s45
	v_subrev_co_u32_e32 v4, vcc, s44, v0
	s_cselect_b32 s11, s47, 0
	s_cselect_b32 s10, s46, 0
	s_and_b64 s[4:5], s[4:5], exec
	v_subb_co_u32_e32 v5, vcc, v1, v5, vcc
	v_cmp_gt_i64_e64 s[4:5], s[48:49], 0
	v_ashrrev_i32_e32 v8, 31, v5
	s_cselect_b32 s55, s35, 0
	s_cselect_b32 s56, s34, 0
	s_and_b64 s[4:5], s[4:5], exec
	v_xor_b32_e32 v4, v4, v8
	s_cselect_b32 s5, s49, 0
	s_cselect_b32 s4, s48, 0
	v_xor_b32_e32 v5, v5, v8
	v_sub_co_u32_e32 v9, vcc, v4, v8
	s_add_u32 s34, s16, s44
	v_subb_co_u32_e32 v8, vcc, v5, v8, vcc
	s_addc_u32 s35, s17, s45
	v_mov_b32_e32 v5, s35
	v_subrev_co_u32_e32 v4, vcc, s34, v0
	v_subb_co_u32_e32 v5, vcc, v1, v5, vcc
	v_add_co_u32_e32 v4, vcc, 1, v4
	v_addc_co_u32_e32 v5, vcc, 0, v5, vcc
	s_lshl_b64 s[34:35], s[44:45], 1
	s_not_b64 s[44:45], s[52:53]
	v_ashrrev_i32_e32 v10, 31, v5
	s_add_u32 s34, s34, s44
	v_xor_b32_e32 v4, v4, v10
	s_addc_u32 s35, s35, s45
	v_xor_b32_e32 v5, v5, v10
	v_sub_co_u32_e32 v4, vcc, v4, v10
	s_add_u32 s9, s34, s9
	v_subb_co_u32_e32 v5, vcc, v5, v10, vcc
	s_addc_u32 s6, s35, s6
	s_add_u32 s9, s9, s16
	v_add_co_u32_e32 v4, vcc, v0, v4
	s_addc_u32 s6, s6, s17
	v_addc_co_u32_e32 v5, vcc, v1, v5, vcc
	v_mov_b32_e32 v10, s6
	v_sub_co_u32_e32 v4, vcc, s9, v4
	v_subb_co_u32_e32 v5, vcc, v10, v5, vcc
	v_add_co_u32_e32 v9, vcc, v4, v9
	v_addc_co_u32_e32 v8, vcc, v5, v8, vcc
	v_mov_b32_e32 v4, s47
	v_subrev_co_u32_e32 v5, vcc, s46, v2
	v_subb_co_u32_e32 v4, vcc, v3, v4, vcc
	v_ashrrev_i32_e32 v10, 31, v4
	v_xor_b32_e32 v5, v5, v10
	v_xor_b32_e32 v4, v4, v10
	v_sub_co_u32_e32 v5, vcc, v5, v10
	s_add_u32 s6, s14, s46
	v_subb_co_u32_e32 v4, vcc, v4, v10, vcc
	s_addc_u32 s9, s15, s47
	v_mov_b32_e32 v10, s9
	v_subrev_co_u32_e32 v11, vcc, s6, v2
	v_subb_co_u32_e32 v10, vcc, v3, v10, vcc
	v_add_co_u32_e32 v11, vcc, 1, v11
	v_addc_co_u32_e32 v10, vcc, 0, v10, vcc
	s_lshl_b64 s[16:17], s[46:47], 1
	s_not_b64 s[10:11], s[10:11]
	v_ashrrev_i32_e32 v12, 31, v10
	s_add_u32 s6, s16, s10
	v_xor_b32_e32 v11, v11, v12
	s_addc_u32 s9, s17, s11
	v_xor_b32_e32 v10, v10, v12
	v_sub_co_u32_e32 v11, vcc, v11, v12
	s_add_u32 s6, s6, s54
	v_subb_co_u32_e32 v10, vcc, v10, v12, vcc
	s_addc_u32 s9, s9, s33
	s_add_u32 s6, s6, s14
	v_add_co_u32_e32 v11, vcc, v2, v11
	s_addc_u32 s9, s9, s15
	v_addc_co_u32_e32 v10, vcc, v3, v10, vcc
	v_mov_b32_e32 v12, s9
	v_sub_co_u32_e32 v11, vcc, s6, v11
	v_subb_co_u32_e32 v10, vcc, v12, v10, vcc
	v_add_co_u32_e32 v11, vcc, v11, v5
	v_addc_co_u32_e32 v10, vcc, v10, v4, vcc
	v_mov_b32_e32 v4, s49
	v_subrev_co_u32_e32 v5, vcc, s48, v6
	v_subb_co_u32_e32 v4, vcc, v7, v4, vcc
	v_ashrrev_i32_e32 v12, 31, v4
	v_xor_b32_e32 v5, v5, v12
	v_xor_b32_e32 v4, v4, v12
	v_sub_co_u32_e32 v5, vcc, v5, v12
	s_add_u32 s6, s12, s48
	v_subb_co_u32_e32 v4, vcc, v4, v12, vcc
	s_addc_u32 s9, s13, s49
	v_mov_b32_e32 v12, s9
	v_subrev_co_u32_e32 v13, vcc, s6, v6
	v_subb_co_u32_e32 v12, vcc, v7, v12, vcc
	v_add_co_u32_e32 v13, vcc, 1, v13
	v_addc_co_u32_e32 v12, vcc, 0, v12, vcc
	s_lshl_b64 s[10:11], s[48:49], 1
	s_not_b64 s[4:5], s[4:5]
	v_ashrrev_i32_e32 v14, 31, v12
	s_add_u32 s4, s10, s4
	v_xor_b32_e32 v13, v13, v14
	s_addc_u32 s5, s11, s5
	v_xor_b32_e32 v12, v12, v14
	v_sub_co_u32_e32 v13, vcc, v13, v14
	s_add_u32 s4, s4, s56
	v_subb_co_u32_e32 v12, vcc, v12, v14, vcc
	s_addc_u32 s5, s5, s55
	s_add_u32 s4, s4, s12
	v_add_co_u32_e32 v13, vcc, v6, v13
	s_addc_u32 s5, s5, s13
	v_addc_co_u32_e32 v12, vcc, v7, v12, vcc
	v_sub_co_u32_e32 v13, vcc, s4, v13
	s_add_u32 s4, s7, s50
	v_mov_b32_e32 v14, s5
	s_addc_u32 s5, 0, s51
	s_add_u32 s6, s8, s0
	s_addc_u32 s7, 0, s1
	s_mul_i32 s0, s18, s7
	s_mul_hi_u32 s1, s18, s6
	s_add_i32 s0, s1, s0
	s_mul_i32 s1, s19, s6
	s_add_i32 s1, s0, s1
	s_mul_i32 s0, s18, s6
	s_lshl_b64 s[0:1], s[0:1], 2
	s_add_u32 s8, s30, s0
	s_addc_u32 s9, s31, s1
	s_mul_i32 s0, s20, s5
	s_mul_hi_u32 s1, s20, s4
	s_add_i32 s0, s1, s0
	s_mul_i32 s1, s21, s4
	v_subb_co_u32_e32 v12, vcc, v14, v12, vcc
	s_add_i32 s1, s0, s1
	s_mul_i32 s0, s20, s4
	v_add_co_u32_e32 v5, vcc, v13, v5
	s_lshl_b64 s[0:1], s[0:1], 2
	v_addc_co_u32_e32 v4, vcc, v12, v4, vcc
	s_add_u32 s8, s8, s0
	s_addc_u32 s9, s9, s1
	v_mul_lo_u32 v12, v4, s22
	v_mul_lo_u32 v13, v5, s23
	v_mad_u64_u32 v[4:5], s[0:1], v5, s22, 0
	v_add3_u32 v5, v5, v13, v12
	v_lshlrev_b64 v[4:5], 2, v[4:5]
	v_mov_b32_e32 v12, s9
	v_add_co_u32_e32 v13, vcc, s8, v4
	v_addc_co_u32_e32 v12, vcc, v12, v5, vcc
	v_mul_lo_u32 v10, v10, s24
	v_mul_lo_u32 v14, v11, s25
	v_mad_u64_u32 v[4:5], s[0:1], v11, s24, 0
	v_add3_u32 v5, v5, v14, v10
	v_lshlrev_b64 v[4:5], 2, v[4:5]
	v_add_co_u32_e32 v10, vcc, v13, v4
	v_addc_co_u32_e32 v11, vcc, v12, v5, vcc
	v_mul_lo_u32 v8, v8, s26
	v_mul_lo_u32 v12, v9, s27
	v_mad_u64_u32 v[4:5], s[0:1], v9, s26, 0
	v_add3_u32 v5, v5, v12, v8
	v_lshlrev_b64 v[4:5], 2, v[4:5]
	v_add_co_u32_e32 v4, vcc, v10, v4
	v_addc_co_u32_e32 v5, vcc, v11, v5, vcc
	global_load_dword v8, v[4:5], off
	s_mul_i32 s0, s36, s7
	s_mul_hi_u32 s1, s36, s6
	s_add_i32 s0, s1, s0
	s_mul_i32 s1, s37, s6
	s_add_i32 s1, s0, s1
	s_mul_i32 s0, s36, s6
	s_lshl_b64 s[0:1], s[0:1], 2
	s_add_u32 s6, s28, s0
	s_addc_u32 s7, s29, s1
	s_mul_i32 s0, s38, s5
	s_mul_hi_u32 s1, s38, s4
	s_add_i32 s0, s1, s0
	s_mul_i32 s1, s39, s4
	s_add_i32 s1, s0, s1
	s_mul_i32 s0, s38, s4
	s_lshl_b64 s[0:1], s[0:1], 2
	s_add_u32 s4, s6, s0
	s_addc_u32 s5, s7, s1
	v_mul_lo_u32 v7, v7, s40
	v_mul_lo_u32 v9, v6, s41
	v_mad_u64_u32 v[4:5], s[0:1], v6, s40, 0
	v_add3_u32 v5, v5, v9, v7
	v_lshlrev_b64 v[4:5], 2, v[4:5]
	v_mov_b32_e32 v6, s5
	v_add_co_u32_e32 v4, vcc, s4, v4
	v_addc_co_u32_e32 v5, vcc, v6, v5, vcc
	v_mul_lo_u32 v6, v3, s42
	v_mul_lo_u32 v7, v2, s43
	v_mad_u64_u32 v[2:3], s[0:1], v2, s42, 0
	v_add3_u32 v3, v3, v7, v6
	v_lshlrev_b64 v[2:3], 2, v[2:3]
	v_add_co_u32_e32 v2, vcc, v4, v2
	v_addc_co_u32_e32 v3, vcc, v5, v3, vcc
	v_mul_lo_u32 v4, v1, s2
	v_mul_lo_u32 v5, v0, s3
	v_mad_u64_u32 v[0:1], s[0:1], v0, s2, 0
	v_add3_u32 v1, v1, v5, v4
	v_lshlrev_b64 v[0:1], 2, v[0:1]
	v_add_co_u32_e32 v0, vcc, v2, v0
	v_addc_co_u32_e32 v1, vcc, v3, v1, vcc
	s_waitcnt vmcnt(0)
	global_store_dword v[0:1], v8, off
.LBB59_14:
	s_endpgm
	.section	.rodata,"a",@progbits
	.p2align	6, 0x0
	.amdhsa_kernel _ZN2at6native12_GLOBAL__N_127reflection_pad3d_out_kernelIiEEvN5torch10headeronly6detail27GenericPackedTensorAccessorINS5_14TensorAccessorIN3c108ArrayRefIlEEKT_Lm4ENS4_16DefaultPtrTraitsElEENS_6detail16IndexBoundsCheckILm5ElEESC_Lm5ESD_lEENS6_INS7_ISA_SB_Lm4ESD_lEESH_SB_Lm5ESD_lEElllll
		.amdhsa_group_segment_fixed_size 0
		.amdhsa_private_segment_fixed_size 0
		.amdhsa_kernarg_size 472
		.amdhsa_user_sgpr_count 6
		.amdhsa_user_sgpr_private_segment_buffer 1
		.amdhsa_user_sgpr_dispatch_ptr 0
		.amdhsa_user_sgpr_queue_ptr 0
		.amdhsa_user_sgpr_kernarg_segment_ptr 1
		.amdhsa_user_sgpr_dispatch_id 0
		.amdhsa_user_sgpr_flat_scratch_init 0
		.amdhsa_user_sgpr_kernarg_preload_length 0
		.amdhsa_user_sgpr_kernarg_preload_offset 0
		.amdhsa_user_sgpr_private_segment_size 0
		.amdhsa_uses_dynamic_stack 0
		.amdhsa_system_sgpr_private_segment_wavefront_offset 0
		.amdhsa_system_sgpr_workgroup_id_x 1
		.amdhsa_system_sgpr_workgroup_id_y 1
		.amdhsa_system_sgpr_workgroup_id_z 1
		.amdhsa_system_sgpr_workgroup_info 0
		.amdhsa_system_vgpr_workitem_id 0
		.amdhsa_next_free_vgpr 17
		.amdhsa_next_free_sgpr 57
		.amdhsa_accum_offset 20
		.amdhsa_reserve_vcc 1
		.amdhsa_reserve_flat_scratch 0
		.amdhsa_float_round_mode_32 0
		.amdhsa_float_round_mode_16_64 0
		.amdhsa_float_denorm_mode_32 3
		.amdhsa_float_denorm_mode_16_64 3
		.amdhsa_dx10_clamp 1
		.amdhsa_ieee_mode 1
		.amdhsa_fp16_overflow 0
		.amdhsa_tg_split 0
		.amdhsa_exception_fp_ieee_invalid_op 0
		.amdhsa_exception_fp_denorm_src 0
		.amdhsa_exception_fp_ieee_div_zero 0
		.amdhsa_exception_fp_ieee_overflow 0
		.amdhsa_exception_fp_ieee_underflow 0
		.amdhsa_exception_fp_ieee_inexact 0
		.amdhsa_exception_int_div_zero 0
	.end_amdhsa_kernel
	.section	.text._ZN2at6native12_GLOBAL__N_127reflection_pad3d_out_kernelIiEEvN5torch10headeronly6detail27GenericPackedTensorAccessorINS5_14TensorAccessorIN3c108ArrayRefIlEEKT_Lm4ENS4_16DefaultPtrTraitsElEENS_6detail16IndexBoundsCheckILm5ElEESC_Lm5ESD_lEENS6_INS7_ISA_SB_Lm4ESD_lEESH_SB_Lm5ESD_lEElllll,"axG",@progbits,_ZN2at6native12_GLOBAL__N_127reflection_pad3d_out_kernelIiEEvN5torch10headeronly6detail27GenericPackedTensorAccessorINS5_14TensorAccessorIN3c108ArrayRefIlEEKT_Lm4ENS4_16DefaultPtrTraitsElEENS_6detail16IndexBoundsCheckILm5ElEESC_Lm5ESD_lEENS6_INS7_ISA_SB_Lm4ESD_lEESH_SB_Lm5ESD_lEElllll,comdat
.Lfunc_end59:
	.size	_ZN2at6native12_GLOBAL__N_127reflection_pad3d_out_kernelIiEEvN5torch10headeronly6detail27GenericPackedTensorAccessorINS5_14TensorAccessorIN3c108ArrayRefIlEEKT_Lm4ENS4_16DefaultPtrTraitsElEENS_6detail16IndexBoundsCheckILm5ElEESC_Lm5ESD_lEENS6_INS7_ISA_SB_Lm4ESD_lEESH_SB_Lm5ESD_lEElllll, .Lfunc_end59-_ZN2at6native12_GLOBAL__N_127reflection_pad3d_out_kernelIiEEvN5torch10headeronly6detail27GenericPackedTensorAccessorINS5_14TensorAccessorIN3c108ArrayRefIlEEKT_Lm4ENS4_16DefaultPtrTraitsElEENS_6detail16IndexBoundsCheckILm5ElEESC_Lm5ESD_lEENS6_INS7_ISA_SB_Lm4ESD_lEESH_SB_Lm5ESD_lEElllll
                                        ; -- End function
	.section	.AMDGPU.csdata,"",@progbits
; Kernel info:
; codeLenInByte = 3680
; NumSgprs: 61
; NumVgprs: 17
; NumAgprs: 0
; TotalNumVgprs: 17
; ScratchSize: 0
; MemoryBound: 0
; FloatMode: 240
; IeeeMode: 1
; LDSByteSize: 0 bytes/workgroup (compile time only)
; SGPRBlocks: 7
; VGPRBlocks: 2
; NumSGPRsForWavesPerEU: 61
; NumVGPRsForWavesPerEU: 17
; AccumOffset: 20
; Occupancy: 8
; WaveLimiterHint : 0
; COMPUTE_PGM_RSRC2:SCRATCH_EN: 0
; COMPUTE_PGM_RSRC2:USER_SGPR: 6
; COMPUTE_PGM_RSRC2:TRAP_HANDLER: 0
; COMPUTE_PGM_RSRC2:TGID_X_EN: 1
; COMPUTE_PGM_RSRC2:TGID_Y_EN: 1
; COMPUTE_PGM_RSRC2:TGID_Z_EN: 1
; COMPUTE_PGM_RSRC2:TIDIG_COMP_CNT: 0
; COMPUTE_PGM_RSRC3_GFX90A:ACCUM_OFFSET: 4
; COMPUTE_PGM_RSRC3_GFX90A:TG_SPLIT: 0
	.section	.text._ZN2at6native12_GLOBAL__N_127reflection_pad3d_out_kernelIlEEvN5torch10headeronly6detail27GenericPackedTensorAccessorINS5_14TensorAccessorIN3c108ArrayRefIlEEKT_Lm4ENS4_16DefaultPtrTraitsElEENS_6detail16IndexBoundsCheckILm5ElEESC_Lm5ESD_lEENS6_INS7_ISA_SB_Lm4ESD_lEESH_SB_Lm5ESD_lEElllll,"axG",@progbits,_ZN2at6native12_GLOBAL__N_127reflection_pad3d_out_kernelIlEEvN5torch10headeronly6detail27GenericPackedTensorAccessorINS5_14TensorAccessorIN3c108ArrayRefIlEEKT_Lm4ENS4_16DefaultPtrTraitsElEENS_6detail16IndexBoundsCheckILm5ElEESC_Lm5ESD_lEENS6_INS7_ISA_SB_Lm4ESD_lEESH_SB_Lm5ESD_lEElllll,comdat
	.globl	_ZN2at6native12_GLOBAL__N_127reflection_pad3d_out_kernelIlEEvN5torch10headeronly6detail27GenericPackedTensorAccessorINS5_14TensorAccessorIN3c108ArrayRefIlEEKT_Lm4ENS4_16DefaultPtrTraitsElEENS_6detail16IndexBoundsCheckILm5ElEESC_Lm5ESD_lEENS6_INS7_ISA_SB_Lm4ESD_lEESH_SB_Lm5ESD_lEElllll ; -- Begin function _ZN2at6native12_GLOBAL__N_127reflection_pad3d_out_kernelIlEEvN5torch10headeronly6detail27GenericPackedTensorAccessorINS5_14TensorAccessorIN3c108ArrayRefIlEEKT_Lm4ENS4_16DefaultPtrTraitsElEENS_6detail16IndexBoundsCheckILm5ElEESC_Lm5ESD_lEENS6_INS7_ISA_SB_Lm4ESD_lEESH_SB_Lm5ESD_lEElllll
	.p2align	8
	.type	_ZN2at6native12_GLOBAL__N_127reflection_pad3d_out_kernelIlEEvN5torch10headeronly6detail27GenericPackedTensorAccessorINS5_14TensorAccessorIN3c108ArrayRefIlEEKT_Lm4ENS4_16DefaultPtrTraitsElEENS_6detail16IndexBoundsCheckILm5ElEESC_Lm5ESD_lEENS6_INS7_ISA_SB_Lm4ESD_lEESH_SB_Lm5ESD_lEElllll,@function
_ZN2at6native12_GLOBAL__N_127reflection_pad3d_out_kernelIlEEvN5torch10headeronly6detail27GenericPackedTensorAccessorINS5_14TensorAccessorIN3c108ArrayRefIlEEKT_Lm4ENS4_16DefaultPtrTraitsElEENS_6detail16IndexBoundsCheckILm5ElEESC_Lm5ESD_lEENS6_INS7_ISA_SB_Lm4ESD_lEESH_SB_Lm5ESD_lEElllll: ; @_ZN2at6native12_GLOBAL__N_127reflection_pad3d_out_kernelIlEEvN5torch10headeronly6detail27GenericPackedTensorAccessorINS5_14TensorAccessorIN3c108ArrayRefIlEEKT_Lm4ENS4_16DefaultPtrTraitsElEENS_6detail16IndexBoundsCheckILm5ElEESC_Lm5ESD_lEENS6_INS7_ISA_SB_Lm4ESD_lEESH_SB_Lm5ESD_lEElllll
; %bb.0:
	s_load_dword s0, s[4:5], 0xe4
	s_load_dwordx4 s[12:15], s[4:5], 0x70
	s_load_dwordx2 s[10:11], s[4:5], 0x80
	v_mov_b32_e32 v2, 0
	v_mov_b32_e32 v1, v2
	s_waitcnt lgkmcnt(0)
	s_and_b32 s0, s0, 0xffff
	v_mov_b32_e32 v3, s6
	v_mad_u64_u32 v[0:1], s[0:1], s0, v3, v[0:1]
	s_mul_i32 s0, s10, s15
	s_mul_hi_u32 s1, s10, s14
	s_add_i32 s9, s1, s0
	s_mul_i32 s0, s11, s14
	s_mul_i32 s6, s10, s14
	s_add_i32 s9, s9, s0
	s_mul_i32 s0, s6, s13
	s_mul_hi_u32 s1, s6, s12
	s_add_i32 s0, s1, s0
	s_mul_i32 s1, s9, s12
	s_add_i32 s1, s0, s1
	s_mul_i32 s0, s6, s12
	v_cmp_gt_i64_e32 vcc, s[0:1], v[0:1]
	s_and_saveexec_b64 s[0:1], vcc
	s_cbranch_execz .LBB60_14
; %bb.1:
	v_or_b32_e32 v3, s11, v1
	v_cmp_ne_u64_e32 vcc, 0, v[2:3]
                                        ; implicit-def: $vgpr4_vgpr5
	s_and_saveexec_b64 s[0:1], vcc
	s_xor_b64 s[2:3], exec, s[0:1]
	s_cbranch_execz .LBB60_3
; %bb.2:
	s_ashr_i32 s12, s11, 31
	s_add_u32 s0, s10, s12
	s_mov_b32 s13, s12
	s_addc_u32 s1, s11, s12
	s_xor_b64 s[16:17], s[0:1], s[12:13]
	v_cvt_f32_u32_e32 v2, s16
	v_cvt_f32_u32_e32 v3, s17
	s_sub_u32 s0, 0, s16
	s_subb_u32 s1, 0, s17
	v_madmk_f32 v2, v3, 0x4f800000, v2
	v_rcp_f32_e32 v2, v2
	v_mul_f32_e32 v2, 0x5f7ffffc, v2
	v_mul_f32_e32 v3, 0x2f800000, v2
	v_trunc_f32_e32 v3, v3
	v_madmk_f32 v2, v3, 0xcf800000, v2
	v_cvt_u32_f32_e32 v3, v3
	v_cvt_u32_f32_e32 v2, v2
	v_mul_lo_u32 v4, s0, v3
	v_mul_hi_u32 v6, s0, v2
	v_mul_lo_u32 v5, s1, v2
	v_add_u32_e32 v4, v6, v4
	v_mul_lo_u32 v7, s0, v2
	v_add_u32_e32 v4, v4, v5
	v_mul_lo_u32 v6, v2, v4
	v_mul_hi_u32 v8, v2, v7
	v_mul_hi_u32 v5, v2, v4
	v_add_co_u32_e32 v6, vcc, v8, v6
	v_addc_co_u32_e32 v5, vcc, 0, v5, vcc
	v_mul_hi_u32 v9, v3, v7
	v_mul_lo_u32 v7, v3, v7
	v_add_co_u32_e32 v6, vcc, v6, v7
	v_mul_hi_u32 v8, v3, v4
	v_addc_co_u32_e32 v5, vcc, v5, v9, vcc
	v_addc_co_u32_e32 v6, vcc, 0, v8, vcc
	v_mul_lo_u32 v4, v3, v4
	v_add_co_u32_e32 v4, vcc, v5, v4
	v_addc_co_u32_e32 v5, vcc, 0, v6, vcc
	v_add_co_u32_e32 v2, vcc, v2, v4
	v_addc_co_u32_e32 v3, vcc, v3, v5, vcc
	v_mul_lo_u32 v4, s0, v3
	v_mul_hi_u32 v5, s0, v2
	v_add_u32_e32 v4, v5, v4
	v_mul_lo_u32 v5, s1, v2
	v_add_u32_e32 v4, v4, v5
	v_mul_lo_u32 v6, s0, v2
	v_mul_hi_u32 v7, v3, v6
	v_mul_lo_u32 v8, v3, v6
	v_mul_lo_u32 v10, v2, v4
	v_mul_hi_u32 v6, v2, v6
	v_mul_hi_u32 v9, v2, v4
	v_add_co_u32_e32 v6, vcc, v6, v10
	v_addc_co_u32_e32 v9, vcc, 0, v9, vcc
	v_add_co_u32_e32 v6, vcc, v6, v8
	v_mul_hi_u32 v5, v3, v4
	v_addc_co_u32_e32 v6, vcc, v9, v7, vcc
	v_addc_co_u32_e32 v5, vcc, 0, v5, vcc
	v_mul_lo_u32 v4, v3, v4
	v_add_co_u32_e32 v4, vcc, v6, v4
	v_addc_co_u32_e32 v5, vcc, 0, v5, vcc
	v_add_co_u32_e32 v4, vcc, v2, v4
	v_addc_co_u32_e32 v5, vcc, v3, v5, vcc
	v_ashrrev_i32_e32 v6, 31, v1
	v_add_co_u32_e32 v2, vcc, v0, v6
	v_addc_co_u32_e32 v3, vcc, v1, v6, vcc
	v_xor_b32_e32 v8, v2, v6
	v_xor_b32_e32 v7, v3, v6
	v_mad_u64_u32 v[2:3], s[0:1], v8, v5, 0
	v_mul_hi_u32 v9, v8, v4
	v_add_co_u32_e32 v9, vcc, v9, v2
	v_addc_co_u32_e32 v10, vcc, 0, v3, vcc
	v_mad_u64_u32 v[2:3], s[0:1], v7, v5, 0
	v_mad_u64_u32 v[4:5], s[0:1], v7, v4, 0
	v_add_co_u32_e32 v4, vcc, v9, v4
	v_addc_co_u32_e32 v4, vcc, v10, v5, vcc
	v_addc_co_u32_e32 v3, vcc, 0, v3, vcc
	v_add_co_u32_e32 v4, vcc, v4, v2
	v_addc_co_u32_e32 v5, vcc, 0, v3, vcc
	v_mul_lo_u32 v9, s17, v4
	v_mul_lo_u32 v10, s16, v5
	v_mad_u64_u32 v[2:3], s[0:1], s16, v4, 0
	v_add3_u32 v3, v3, v10, v9
	v_sub_u32_e32 v9, v7, v3
	v_mov_b32_e32 v10, s17
	v_sub_co_u32_e32 v2, vcc, v8, v2
	v_subb_co_u32_e64 v8, s[0:1], v9, v10, vcc
	v_subrev_co_u32_e64 v9, s[0:1], s16, v2
	v_subbrev_co_u32_e64 v8, s[0:1], 0, v8, s[0:1]
	v_cmp_le_u32_e64 s[0:1], s17, v8
	v_cndmask_b32_e64 v10, 0, -1, s[0:1]
	v_cmp_le_u32_e64 s[0:1], s16, v9
	v_cndmask_b32_e64 v9, 0, -1, s[0:1]
	v_cmp_eq_u32_e64 s[0:1], s17, v8
	v_cndmask_b32_e64 v8, v10, v9, s[0:1]
	v_add_co_u32_e64 v9, s[0:1], 2, v4
	v_subb_co_u32_e32 v3, vcc, v7, v3, vcc
	v_addc_co_u32_e64 v10, s[0:1], 0, v5, s[0:1]
	v_cmp_le_u32_e32 vcc, s17, v3
	v_add_co_u32_e64 v11, s[0:1], 1, v4
	v_cndmask_b32_e64 v7, 0, -1, vcc
	v_cmp_le_u32_e32 vcc, s16, v2
	v_addc_co_u32_e64 v12, s[0:1], 0, v5, s[0:1]
	v_cndmask_b32_e64 v2, 0, -1, vcc
	v_cmp_eq_u32_e32 vcc, s17, v3
	v_cmp_ne_u32_e64 s[0:1], 0, v8
	v_cndmask_b32_e32 v2, v7, v2, vcc
	v_cndmask_b32_e64 v8, v12, v10, s[0:1]
	v_cmp_ne_u32_e32 vcc, 0, v2
	v_cndmask_b32_e64 v3, v11, v9, s[0:1]
	v_cndmask_b32_e32 v2, v5, v8, vcc
	v_cndmask_b32_e32 v3, v4, v3, vcc
	v_xor_b32_e32 v5, s12, v6
	v_xor_b32_e32 v3, v3, v5
	;; [unrolled: 1-line block ×3, first 2 shown]
	v_sub_co_u32_e32 v4, vcc, v3, v5
	v_subb_co_u32_e32 v5, vcc, v2, v5, vcc
.LBB60_3:
	s_andn2_saveexec_b64 s[0:1], s[2:3]
	s_cbranch_execz .LBB60_5
; %bb.4:
	v_cvt_f32_u32_e32 v2, s10
	s_sub_i32 s2, 0, s10
	v_rcp_iflag_f32_e32 v2, v2
	v_mul_f32_e32 v2, 0x4f7ffffe, v2
	v_cvt_u32_f32_e32 v2, v2
	v_mul_lo_u32 v3, s2, v2
	v_mul_hi_u32 v3, v2, v3
	v_add_u32_e32 v2, v2, v3
	v_mul_hi_u32 v2, v0, v2
	v_mul_lo_u32 v3, v2, s10
	v_sub_u32_e32 v3, v0, v3
	v_add_u32_e32 v4, 1, v2
	v_subrev_u32_e32 v5, s10, v3
	v_cmp_le_u32_e32 vcc, s10, v3
	v_cndmask_b32_e32 v3, v3, v5, vcc
	v_cndmask_b32_e32 v2, v2, v4, vcc
	v_add_u32_e32 v4, 1, v2
	v_cmp_le_u32_e32 vcc, s10, v3
	v_cndmask_b32_e32 v4, v2, v4, vcc
	v_mov_b32_e32 v5, 0
.LBB60_5:
	s_or_b64 exec, exec, s[0:1]
	v_or_b32_e32 v3, s15, v5
	v_mov_b32_e32 v2, 0
	v_cmp_ne_u64_e32 vcc, 0, v[2:3]
                                        ; implicit-def: $vgpr2_vgpr3
	s_and_saveexec_b64 s[0:1], vcc
	s_xor_b64 s[12:13], exec, s[0:1]
	s_cbranch_execz .LBB60_7
; %bb.6:
	s_ashr_i32 s0, s15, 31
	s_add_u32 s2, s14, s0
	s_mov_b32 s1, s0
	s_addc_u32 s3, s15, s0
	s_xor_b64 s[16:17], s[2:3], s[0:1]
	v_cvt_f32_u32_e32 v2, s16
	v_cvt_f32_u32_e32 v3, s17
	s_sub_u32 s0, 0, s16
	s_subb_u32 s1, 0, s17
	v_madmk_f32 v2, v3, 0x4f800000, v2
	v_rcp_f32_e32 v2, v2
	v_mul_f32_e32 v2, 0x5f7ffffc, v2
	v_mul_f32_e32 v3, 0x2f800000, v2
	v_trunc_f32_e32 v3, v3
	v_madmk_f32 v2, v3, 0xcf800000, v2
	v_cvt_u32_f32_e32 v3, v3
	v_cvt_u32_f32_e32 v2, v2
	v_mul_lo_u32 v6, s0, v3
	v_mul_hi_u32 v8, s0, v2
	v_mul_lo_u32 v7, s1, v2
	v_add_u32_e32 v6, v8, v6
	v_mul_lo_u32 v9, s0, v2
	v_add_u32_e32 v6, v6, v7
	v_mul_lo_u32 v8, v2, v6
	v_mul_hi_u32 v10, v2, v9
	v_mul_hi_u32 v7, v2, v6
	v_add_co_u32_e32 v8, vcc, v10, v8
	v_addc_co_u32_e32 v7, vcc, 0, v7, vcc
	v_mul_hi_u32 v11, v3, v9
	v_mul_lo_u32 v9, v3, v9
	v_add_co_u32_e32 v8, vcc, v8, v9
	v_mul_hi_u32 v10, v3, v6
	v_addc_co_u32_e32 v7, vcc, v7, v11, vcc
	v_addc_co_u32_e32 v8, vcc, 0, v10, vcc
	v_mul_lo_u32 v6, v3, v6
	v_add_co_u32_e32 v6, vcc, v7, v6
	v_addc_co_u32_e32 v7, vcc, 0, v8, vcc
	v_add_co_u32_e32 v2, vcc, v2, v6
	v_addc_co_u32_e32 v3, vcc, v3, v7, vcc
	v_mul_lo_u32 v6, s0, v3
	v_mul_hi_u32 v7, s0, v2
	v_add_u32_e32 v6, v7, v6
	v_mul_lo_u32 v7, s1, v2
	v_add_u32_e32 v6, v6, v7
	v_mul_lo_u32 v8, s0, v2
	v_mul_hi_u32 v9, v3, v8
	v_mul_lo_u32 v10, v3, v8
	v_mul_lo_u32 v12, v2, v6
	v_mul_hi_u32 v8, v2, v8
	v_mul_hi_u32 v11, v2, v6
	v_add_co_u32_e32 v8, vcc, v8, v12
	v_addc_co_u32_e32 v11, vcc, 0, v11, vcc
	v_add_co_u32_e32 v8, vcc, v8, v10
	v_mul_hi_u32 v7, v3, v6
	v_addc_co_u32_e32 v8, vcc, v11, v9, vcc
	v_addc_co_u32_e32 v7, vcc, 0, v7, vcc
	v_mul_lo_u32 v6, v3, v6
	v_add_co_u32_e32 v6, vcc, v8, v6
	v_addc_co_u32_e32 v7, vcc, 0, v7, vcc
	v_add_co_u32_e32 v6, vcc, v2, v6
	v_addc_co_u32_e32 v7, vcc, v3, v7, vcc
	v_ashrrev_i32_e32 v8, 31, v5
	v_add_co_u32_e32 v2, vcc, v4, v8
	v_addc_co_u32_e32 v3, vcc, v5, v8, vcc
	v_xor_b32_e32 v10, v2, v8
	v_xor_b32_e32 v9, v3, v8
	v_mad_u64_u32 v[2:3], s[0:1], v10, v7, 0
	v_mul_hi_u32 v11, v10, v6
	v_add_co_u32_e32 v11, vcc, v11, v2
	v_addc_co_u32_e32 v12, vcc, 0, v3, vcc
	v_mad_u64_u32 v[2:3], s[0:1], v9, v7, 0
	v_mad_u64_u32 v[6:7], s[0:1], v9, v6, 0
	v_add_co_u32_e32 v6, vcc, v11, v6
	v_addc_co_u32_e32 v6, vcc, v12, v7, vcc
	v_addc_co_u32_e32 v3, vcc, 0, v3, vcc
	v_add_co_u32_e32 v2, vcc, v6, v2
	v_addc_co_u32_e32 v3, vcc, 0, v3, vcc
	v_mul_lo_u32 v6, s17, v2
	v_mul_lo_u32 v7, s16, v3
	v_mad_u64_u32 v[2:3], s[0:1], s16, v2, 0
	v_add3_u32 v3, v3, v7, v6
	v_sub_u32_e32 v6, v9, v3
	v_mov_b32_e32 v7, s17
	v_sub_co_u32_e32 v2, vcc, v10, v2
	v_subb_co_u32_e64 v6, s[0:1], v6, v7, vcc
	v_subrev_co_u32_e64 v10, s[0:1], s16, v2
	v_subbrev_co_u32_e64 v11, s[2:3], 0, v6, s[0:1]
	v_cmp_le_u32_e64 s[2:3], s17, v11
	v_cndmask_b32_e64 v12, 0, -1, s[2:3]
	v_cmp_le_u32_e64 s[2:3], s16, v10
	v_subb_co_u32_e64 v6, s[0:1], v6, v7, s[0:1]
	v_cndmask_b32_e64 v13, 0, -1, s[2:3]
	v_cmp_eq_u32_e64 s[2:3], s17, v11
	v_subrev_co_u32_e64 v7, s[0:1], s16, v10
	v_subb_co_u32_e32 v3, vcc, v9, v3, vcc
	v_cndmask_b32_e64 v12, v12, v13, s[2:3]
	v_subbrev_co_u32_e64 v6, s[0:1], 0, v6, s[0:1]
	v_cmp_le_u32_e32 vcc, s17, v3
	v_cmp_ne_u32_e64 s[0:1], 0, v12
	v_cndmask_b32_e64 v9, 0, -1, vcc
	v_cmp_le_u32_e32 vcc, s16, v2
	v_cndmask_b32_e64 v6, v11, v6, s[0:1]
	v_cndmask_b32_e64 v11, 0, -1, vcc
	v_cmp_eq_u32_e32 vcc, s17, v3
	v_cndmask_b32_e32 v9, v9, v11, vcc
	v_cmp_ne_u32_e32 vcc, 0, v9
	v_cndmask_b32_e32 v3, v3, v6, vcc
	v_cndmask_b32_e64 v6, v10, v7, s[0:1]
	v_cndmask_b32_e32 v2, v2, v6, vcc
	v_xor_b32_e32 v2, v2, v8
	v_xor_b32_e32 v3, v3, v8
	v_sub_co_u32_e32 v2, vcc, v2, v8
	v_subb_co_u32_e32 v3, vcc, v3, v8, vcc
.LBB60_7:
	s_or_saveexec_b64 s[0:1], s[12:13]
	s_load_dwordx2 s[2:3], s[4:5], 0xa8
	s_load_dwordx8 s[36:43], s[4:5], 0x88
	s_xor_b64 exec, exec, s[0:1]
	s_cbranch_execz .LBB60_9
; %bb.8:
	v_cvt_f32_u32_e32 v2, s14
	s_sub_i32 s12, 0, s14
	v_rcp_iflag_f32_e32 v2, v2
	v_mul_f32_e32 v2, 0x4f7ffffe, v2
	v_cvt_u32_f32_e32 v2, v2
	v_mul_lo_u32 v3, s12, v2
	v_mul_hi_u32 v3, v2, v3
	v_add_u32_e32 v2, v2, v3
	v_mul_hi_u32 v2, v4, v2
	v_mul_lo_u32 v2, v2, s14
	v_sub_u32_e32 v2, v4, v2
	v_subrev_u32_e32 v3, s14, v2
	v_cmp_le_u32_e32 vcc, s14, v2
	v_cndmask_b32_e32 v2, v2, v3, vcc
	v_subrev_u32_e32 v3, s14, v2
	v_cmp_le_u32_e32 vcc, s14, v2
	v_cndmask_b32_e32 v2, v2, v3, vcc
	v_mov_b32_e32 v3, 0
.LBB60_9:
	s_or_b64 exec, exec, s[0:1]
	s_load_dwordx2 s[28:29], s[4:5], 0x58
	s_load_dwordx2 s[30:31], s[4:5], 0x0
	v_or_b32_e32 v7, s9, v1
	v_mov_b32_e32 v6, 0
	v_cmp_ne_u64_e32 vcc, 0, v[6:7]
                                        ; implicit-def: $vgpr6_vgpr7
	s_and_saveexec_b64 s[0:1], vcc
	s_xor_b64 s[12:13], exec, s[0:1]
	s_cbranch_execz .LBB60_11
; %bb.10:
	s_ashr_i32 s14, s9, 31
	s_add_u32 s0, s6, s14
	s_mov_b32 s15, s14
	s_addc_u32 s1, s9, s14
	s_xor_b64 s[16:17], s[0:1], s[14:15]
	v_cvt_f32_u32_e32 v6, s16
	v_cvt_f32_u32_e32 v7, s17
	s_sub_u32 s0, 0, s16
	s_subb_u32 s1, 0, s17
	v_madmk_f32 v6, v7, 0x4f800000, v6
	v_rcp_f32_e32 v6, v6
	v_mul_f32_e32 v6, 0x5f7ffffc, v6
	v_mul_f32_e32 v7, 0x2f800000, v6
	v_trunc_f32_e32 v7, v7
	v_madmk_f32 v6, v7, 0xcf800000, v6
	v_cvt_u32_f32_e32 v7, v7
	v_cvt_u32_f32_e32 v6, v6
	v_mul_lo_u32 v8, s0, v7
	v_mul_hi_u32 v10, s0, v6
	v_mul_lo_u32 v9, s1, v6
	v_add_u32_e32 v8, v10, v8
	v_mul_lo_u32 v11, s0, v6
	v_add_u32_e32 v8, v8, v9
	v_mul_lo_u32 v10, v6, v8
	v_mul_hi_u32 v12, v6, v11
	v_mul_hi_u32 v9, v6, v8
	v_add_co_u32_e32 v10, vcc, v12, v10
	v_addc_co_u32_e32 v9, vcc, 0, v9, vcc
	v_mul_hi_u32 v13, v7, v11
	v_mul_lo_u32 v11, v7, v11
	v_add_co_u32_e32 v10, vcc, v10, v11
	v_mul_hi_u32 v12, v7, v8
	v_addc_co_u32_e32 v9, vcc, v9, v13, vcc
	v_addc_co_u32_e32 v10, vcc, 0, v12, vcc
	v_mul_lo_u32 v8, v7, v8
	v_add_co_u32_e32 v8, vcc, v9, v8
	v_addc_co_u32_e32 v9, vcc, 0, v10, vcc
	v_add_co_u32_e32 v6, vcc, v6, v8
	v_addc_co_u32_e32 v7, vcc, v7, v9, vcc
	v_mul_lo_u32 v8, s0, v7
	v_mul_hi_u32 v9, s0, v6
	v_add_u32_e32 v8, v9, v8
	v_mul_lo_u32 v9, s1, v6
	v_add_u32_e32 v8, v8, v9
	v_mul_lo_u32 v10, s0, v6
	v_mul_hi_u32 v11, v7, v10
	v_mul_lo_u32 v12, v7, v10
	v_mul_lo_u32 v14, v6, v8
	v_mul_hi_u32 v10, v6, v10
	v_mul_hi_u32 v13, v6, v8
	v_add_co_u32_e32 v10, vcc, v10, v14
	v_addc_co_u32_e32 v13, vcc, 0, v13, vcc
	v_add_co_u32_e32 v10, vcc, v10, v12
	v_mul_hi_u32 v9, v7, v8
	v_addc_co_u32_e32 v10, vcc, v13, v11, vcc
	v_addc_co_u32_e32 v9, vcc, 0, v9, vcc
	v_mul_lo_u32 v8, v7, v8
	v_add_co_u32_e32 v8, vcc, v10, v8
	v_addc_co_u32_e32 v9, vcc, 0, v9, vcc
	v_add_co_u32_e32 v8, vcc, v6, v8
	v_addc_co_u32_e32 v9, vcc, v7, v9, vcc
	v_ashrrev_i32_e32 v10, 31, v1
	v_add_co_u32_e32 v6, vcc, v0, v10
	v_addc_co_u32_e32 v7, vcc, v1, v10, vcc
	v_xor_b32_e32 v12, v6, v10
	v_xor_b32_e32 v11, v7, v10
	v_mad_u64_u32 v[6:7], s[0:1], v12, v9, 0
	v_mul_hi_u32 v13, v12, v8
	v_add_co_u32_e32 v13, vcc, v13, v6
	v_addc_co_u32_e32 v14, vcc, 0, v7, vcc
	v_mad_u64_u32 v[6:7], s[0:1], v11, v9, 0
	v_mad_u64_u32 v[8:9], s[0:1], v11, v8, 0
	v_add_co_u32_e32 v8, vcc, v13, v8
	v_addc_co_u32_e32 v8, vcc, v14, v9, vcc
	v_addc_co_u32_e32 v7, vcc, 0, v7, vcc
	v_add_co_u32_e32 v8, vcc, v8, v6
	v_addc_co_u32_e32 v9, vcc, 0, v7, vcc
	v_mul_lo_u32 v13, s17, v8
	v_mul_lo_u32 v14, s16, v9
	v_mad_u64_u32 v[6:7], s[0:1], s16, v8, 0
	v_add3_u32 v7, v7, v14, v13
	v_sub_u32_e32 v13, v11, v7
	v_mov_b32_e32 v14, s17
	v_sub_co_u32_e32 v6, vcc, v12, v6
	v_subb_co_u32_e64 v12, s[0:1], v13, v14, vcc
	v_subrev_co_u32_e64 v13, s[0:1], s16, v6
	v_subbrev_co_u32_e64 v12, s[0:1], 0, v12, s[0:1]
	v_cmp_le_u32_e64 s[0:1], s17, v12
	v_cndmask_b32_e64 v14, 0, -1, s[0:1]
	v_cmp_le_u32_e64 s[0:1], s16, v13
	v_cndmask_b32_e64 v13, 0, -1, s[0:1]
	v_cmp_eq_u32_e64 s[0:1], s17, v12
	v_cndmask_b32_e64 v12, v14, v13, s[0:1]
	v_add_co_u32_e64 v13, s[0:1], 2, v8
	v_subb_co_u32_e32 v7, vcc, v11, v7, vcc
	v_addc_co_u32_e64 v14, s[0:1], 0, v9, s[0:1]
	v_cmp_le_u32_e32 vcc, s17, v7
	v_add_co_u32_e64 v15, s[0:1], 1, v8
	v_cndmask_b32_e64 v11, 0, -1, vcc
	v_cmp_le_u32_e32 vcc, s16, v6
	v_addc_co_u32_e64 v16, s[0:1], 0, v9, s[0:1]
	v_cndmask_b32_e64 v6, 0, -1, vcc
	v_cmp_eq_u32_e32 vcc, s17, v7
	v_cmp_ne_u32_e64 s[0:1], 0, v12
	v_cndmask_b32_e32 v6, v11, v6, vcc
	v_cndmask_b32_e64 v12, v16, v14, s[0:1]
	v_cmp_ne_u32_e32 vcc, 0, v6
	v_cndmask_b32_e64 v7, v15, v13, s[0:1]
	v_cndmask_b32_e32 v6, v9, v12, vcc
	v_cndmask_b32_e32 v7, v8, v7, vcc
	v_xor_b32_e32 v8, s14, v10
	v_xor_b32_e32 v9, v6, v8
	;; [unrolled: 1-line block ×3, first 2 shown]
	v_sub_co_u32_e32 v6, vcc, v6, v8
	v_subb_co_u32_e32 v7, vcc, v9, v8, vcc
.LBB60_11:
	s_or_saveexec_b64 s[0:1], s[12:13]
	s_load_dwordx16 s[12:27], s[4:5], 0x18
	s_xor_b64 exec, exec, s[0:1]
	s_cbranch_execz .LBB60_13
; %bb.12:
	v_cvt_f32_u32_e32 v6, s6
	s_sub_i32 s9, 0, s6
	v_rcp_iflag_f32_e32 v6, v6
	v_mul_f32_e32 v6, 0x4f7ffffe, v6
	v_cvt_u32_f32_e32 v6, v6
	v_mul_lo_u32 v7, s9, v6
	v_mul_hi_u32 v7, v6, v7
	v_add_u32_e32 v6, v6, v7
	v_mul_hi_u32 v6, v0, v6
	v_mul_lo_u32 v7, v6, s6
	v_sub_u32_e32 v7, v0, v7
	v_add_u32_e32 v8, 1, v6
	v_subrev_u32_e32 v9, s6, v7
	v_cmp_le_u32_e32 vcc, s6, v7
	v_cndmask_b32_e32 v7, v7, v9, vcc
	v_cndmask_b32_e32 v6, v6, v8, vcc
	v_add_u32_e32 v8, 1, v6
	v_cmp_le_u32_e32 vcc, s6, v7
	v_cndmask_b32_e32 v6, v6, v8, vcc
	v_mov_b32_e32 v7, 0
.LBB60_13:
	s_or_b64 exec, exec, s[0:1]
	s_load_dwordx8 s[44:51], s[4:5], 0xb0
	v_mul_lo_u32 v8, v5, s10
	v_mul_lo_u32 v9, v4, s11
	v_mad_u64_u32 v[4:5], s[0:1], v4, s10, 0
	s_load_dwordx2 s[0:1], s[4:5], 0xd0
	s_waitcnt lgkmcnt(0)
	s_sub_u32 s4, 0, s44
	s_subb_u32 s5, 0, s45
	s_sub_u32 s10, 0, s46
	s_subb_u32 s11, 0, s47
	;; [unrolled: 2-line block ×3, first 2 shown]
	v_cmp_gt_i64_e64 s[52:53], s[4:5], 0
	s_and_b64 s[52:53], s[52:53], exec
	s_cselect_b32 s6, s5, 0
	s_cselect_b32 s9, s4, 0
	v_cmp_gt_i64_e64 s[4:5], s[44:45], 0
	s_and_b64 s[4:5], s[4:5], exec
	v_cmp_gt_i64_e64 s[4:5], s[10:11], 0
	s_cselect_b32 s53, s45, 0
	s_cselect_b32 s52, s44, 0
	s_and_b64 s[4:5], s[4:5], exec
	v_add3_u32 v5, v5, v9, v8
	v_sub_co_u32_e32 v0, vcc, v0, v4
	v_cmp_gt_i64_e64 s[4:5], s[46:47], 0
	v_subb_co_u32_e32 v1, vcc, v1, v5, vcc
	s_cselect_b32 s33, s11, 0
	s_cselect_b32 s54, s10, 0
	s_and_b64 s[4:5], s[4:5], exec
	v_cmp_gt_i64_e64 s[4:5], s[34:35], 0
	v_mov_b32_e32 v5, s45
	v_subrev_co_u32_e32 v4, vcc, s44, v0
	s_cselect_b32 s11, s47, 0
	s_cselect_b32 s10, s46, 0
	s_and_b64 s[4:5], s[4:5], exec
	v_subb_co_u32_e32 v5, vcc, v1, v5, vcc
	v_cmp_gt_i64_e64 s[4:5], s[48:49], 0
	v_ashrrev_i32_e32 v8, 31, v5
	s_cselect_b32 s55, s35, 0
	s_cselect_b32 s56, s34, 0
	s_and_b64 s[4:5], s[4:5], exec
	v_xor_b32_e32 v4, v4, v8
	s_cselect_b32 s5, s49, 0
	s_cselect_b32 s4, s48, 0
	v_xor_b32_e32 v5, v5, v8
	v_sub_co_u32_e32 v9, vcc, v4, v8
	s_add_u32 s34, s16, s44
	v_subb_co_u32_e32 v8, vcc, v5, v8, vcc
	s_addc_u32 s35, s17, s45
	v_mov_b32_e32 v5, s35
	v_subrev_co_u32_e32 v4, vcc, s34, v0
	v_subb_co_u32_e32 v5, vcc, v1, v5, vcc
	v_add_co_u32_e32 v4, vcc, 1, v4
	v_addc_co_u32_e32 v5, vcc, 0, v5, vcc
	s_lshl_b64 s[34:35], s[44:45], 1
	s_not_b64 s[44:45], s[52:53]
	v_ashrrev_i32_e32 v10, 31, v5
	s_add_u32 s34, s34, s44
	v_xor_b32_e32 v4, v4, v10
	s_addc_u32 s35, s35, s45
	v_xor_b32_e32 v5, v5, v10
	v_sub_co_u32_e32 v4, vcc, v4, v10
	s_add_u32 s9, s34, s9
	v_subb_co_u32_e32 v5, vcc, v5, v10, vcc
	s_addc_u32 s6, s35, s6
	s_add_u32 s9, s9, s16
	v_add_co_u32_e32 v4, vcc, v0, v4
	s_addc_u32 s6, s6, s17
	v_addc_co_u32_e32 v5, vcc, v1, v5, vcc
	v_mov_b32_e32 v10, s6
	v_sub_co_u32_e32 v4, vcc, s9, v4
	v_subb_co_u32_e32 v5, vcc, v10, v5, vcc
	v_add_co_u32_e32 v9, vcc, v4, v9
	v_addc_co_u32_e32 v8, vcc, v5, v8, vcc
	v_mov_b32_e32 v4, s47
	v_subrev_co_u32_e32 v5, vcc, s46, v2
	v_subb_co_u32_e32 v4, vcc, v3, v4, vcc
	v_ashrrev_i32_e32 v10, 31, v4
	v_xor_b32_e32 v5, v5, v10
	v_xor_b32_e32 v4, v4, v10
	v_sub_co_u32_e32 v5, vcc, v5, v10
	s_add_u32 s6, s14, s46
	v_subb_co_u32_e32 v4, vcc, v4, v10, vcc
	s_addc_u32 s9, s15, s47
	v_mov_b32_e32 v10, s9
	v_subrev_co_u32_e32 v11, vcc, s6, v2
	v_subb_co_u32_e32 v10, vcc, v3, v10, vcc
	v_add_co_u32_e32 v11, vcc, 1, v11
	v_addc_co_u32_e32 v10, vcc, 0, v10, vcc
	s_lshl_b64 s[16:17], s[46:47], 1
	s_not_b64 s[10:11], s[10:11]
	v_ashrrev_i32_e32 v12, 31, v10
	s_add_u32 s6, s16, s10
	v_xor_b32_e32 v11, v11, v12
	s_addc_u32 s9, s17, s11
	v_xor_b32_e32 v10, v10, v12
	v_sub_co_u32_e32 v11, vcc, v11, v12
	s_add_u32 s6, s6, s54
	v_subb_co_u32_e32 v10, vcc, v10, v12, vcc
	s_addc_u32 s9, s9, s33
	s_add_u32 s6, s6, s14
	v_add_co_u32_e32 v11, vcc, v2, v11
	s_addc_u32 s9, s9, s15
	v_addc_co_u32_e32 v10, vcc, v3, v10, vcc
	v_mov_b32_e32 v12, s9
	v_sub_co_u32_e32 v11, vcc, s6, v11
	v_subb_co_u32_e32 v10, vcc, v12, v10, vcc
	v_add_co_u32_e32 v11, vcc, v11, v5
	v_addc_co_u32_e32 v10, vcc, v10, v4, vcc
	v_mov_b32_e32 v4, s49
	v_subrev_co_u32_e32 v5, vcc, s48, v6
	v_subb_co_u32_e32 v4, vcc, v7, v4, vcc
	v_ashrrev_i32_e32 v12, 31, v4
	v_xor_b32_e32 v5, v5, v12
	v_xor_b32_e32 v4, v4, v12
	v_sub_co_u32_e32 v5, vcc, v5, v12
	s_add_u32 s6, s12, s48
	v_subb_co_u32_e32 v4, vcc, v4, v12, vcc
	s_addc_u32 s9, s13, s49
	v_mov_b32_e32 v12, s9
	v_subrev_co_u32_e32 v13, vcc, s6, v6
	v_subb_co_u32_e32 v12, vcc, v7, v12, vcc
	v_add_co_u32_e32 v13, vcc, 1, v13
	v_addc_co_u32_e32 v12, vcc, 0, v12, vcc
	s_lshl_b64 s[10:11], s[48:49], 1
	s_not_b64 s[4:5], s[4:5]
	v_ashrrev_i32_e32 v14, 31, v12
	s_add_u32 s4, s10, s4
	v_xor_b32_e32 v13, v13, v14
	s_addc_u32 s5, s11, s5
	v_xor_b32_e32 v12, v12, v14
	v_sub_co_u32_e32 v13, vcc, v13, v14
	s_add_u32 s4, s4, s56
	v_subb_co_u32_e32 v12, vcc, v12, v14, vcc
	s_addc_u32 s5, s5, s55
	s_add_u32 s4, s4, s12
	v_add_co_u32_e32 v13, vcc, v6, v13
	s_addc_u32 s5, s5, s13
	v_addc_co_u32_e32 v12, vcc, v7, v12, vcc
	v_sub_co_u32_e32 v13, vcc, s4, v13
	s_add_u32 s4, s7, s50
	v_mov_b32_e32 v14, s5
	s_addc_u32 s5, 0, s51
	s_add_u32 s6, s8, s0
	s_addc_u32 s7, 0, s1
	s_mul_i32 s0, s18, s7
	s_mul_hi_u32 s1, s18, s6
	s_add_i32 s0, s1, s0
	s_mul_i32 s1, s19, s6
	s_add_i32 s1, s0, s1
	s_mul_i32 s0, s18, s6
	s_lshl_b64 s[0:1], s[0:1], 3
	s_add_u32 s8, s30, s0
	s_addc_u32 s9, s31, s1
	s_mul_i32 s0, s20, s5
	s_mul_hi_u32 s1, s20, s4
	s_add_i32 s0, s1, s0
	s_mul_i32 s1, s21, s4
	v_subb_co_u32_e32 v12, vcc, v14, v12, vcc
	s_add_i32 s1, s0, s1
	s_mul_i32 s0, s20, s4
	v_add_co_u32_e32 v5, vcc, v13, v5
	s_lshl_b64 s[0:1], s[0:1], 3
	v_addc_co_u32_e32 v4, vcc, v12, v4, vcc
	s_add_u32 s8, s8, s0
	s_addc_u32 s9, s9, s1
	v_mul_lo_u32 v12, v4, s22
	v_mul_lo_u32 v13, v5, s23
	v_mad_u64_u32 v[4:5], s[0:1], v5, s22, 0
	v_add3_u32 v5, v5, v13, v12
	v_lshlrev_b64 v[4:5], 3, v[4:5]
	v_mov_b32_e32 v12, s9
	v_add_co_u32_e32 v13, vcc, s8, v4
	v_addc_co_u32_e32 v12, vcc, v12, v5, vcc
	v_mul_lo_u32 v10, v10, s24
	v_mul_lo_u32 v14, v11, s25
	v_mad_u64_u32 v[4:5], s[0:1], v11, s24, 0
	v_add3_u32 v5, v5, v14, v10
	v_lshlrev_b64 v[4:5], 3, v[4:5]
	v_add_co_u32_e32 v10, vcc, v13, v4
	v_addc_co_u32_e32 v11, vcc, v12, v5, vcc
	v_mul_lo_u32 v8, v8, s26
	v_mul_lo_u32 v12, v9, s27
	v_mad_u64_u32 v[4:5], s[0:1], v9, s26, 0
	v_add3_u32 v5, v5, v12, v8
	v_lshlrev_b64 v[4:5], 3, v[4:5]
	v_add_co_u32_e32 v4, vcc, v10, v4
	v_addc_co_u32_e32 v5, vcc, v11, v5, vcc
	global_load_dwordx2 v[4:5], v[4:5], off
	s_mul_i32 s0, s36, s7
	s_mul_hi_u32 s1, s36, s6
	s_add_i32 s0, s1, s0
	s_mul_i32 s1, s37, s6
	s_add_i32 s1, s0, s1
	s_mul_i32 s0, s36, s6
	s_lshl_b64 s[0:1], s[0:1], 3
	s_add_u32 s6, s28, s0
	s_addc_u32 s7, s29, s1
	s_mul_i32 s0, s38, s5
	s_mul_hi_u32 s1, s38, s4
	s_add_i32 s0, s1, s0
	s_mul_i32 s1, s39, s4
	s_add_i32 s1, s0, s1
	s_mul_i32 s0, s38, s4
	s_lshl_b64 s[0:1], s[0:1], 3
	s_add_u32 s4, s6, s0
	s_addc_u32 s5, s7, s1
	v_mul_lo_u32 v8, v7, s40
	v_mul_lo_u32 v9, v6, s41
	v_mad_u64_u32 v[6:7], s[0:1], v6, s40, 0
	v_add3_u32 v7, v7, v9, v8
	v_lshlrev_b64 v[6:7], 3, v[6:7]
	v_mov_b32_e32 v8, s5
	v_add_co_u32_e32 v6, vcc, s4, v6
	v_addc_co_u32_e32 v7, vcc, v8, v7, vcc
	v_mul_lo_u32 v8, v3, s42
	v_mul_lo_u32 v9, v2, s43
	v_mad_u64_u32 v[2:3], s[0:1], v2, s42, 0
	v_add3_u32 v3, v3, v9, v8
	v_lshlrev_b64 v[2:3], 3, v[2:3]
	v_add_co_u32_e32 v2, vcc, v6, v2
	v_addc_co_u32_e32 v3, vcc, v7, v3, vcc
	v_mul_lo_u32 v6, v1, s2
	v_mul_lo_u32 v7, v0, s3
	v_mad_u64_u32 v[0:1], s[0:1], v0, s2, 0
	v_add3_u32 v1, v1, v7, v6
	v_lshlrev_b64 v[0:1], 3, v[0:1]
	v_add_co_u32_e32 v0, vcc, v2, v0
	v_addc_co_u32_e32 v1, vcc, v3, v1, vcc
	s_waitcnt vmcnt(0)
	global_store_dwordx2 v[0:1], v[4:5], off
.LBB60_14:
	s_endpgm
	.section	.rodata,"a",@progbits
	.p2align	6, 0x0
	.amdhsa_kernel _ZN2at6native12_GLOBAL__N_127reflection_pad3d_out_kernelIlEEvN5torch10headeronly6detail27GenericPackedTensorAccessorINS5_14TensorAccessorIN3c108ArrayRefIlEEKT_Lm4ENS4_16DefaultPtrTraitsElEENS_6detail16IndexBoundsCheckILm5ElEESC_Lm5ESD_lEENS6_INS7_ISA_SB_Lm4ESD_lEESH_SB_Lm5ESD_lEElllll
		.amdhsa_group_segment_fixed_size 0
		.amdhsa_private_segment_fixed_size 0
		.amdhsa_kernarg_size 472
		.amdhsa_user_sgpr_count 6
		.amdhsa_user_sgpr_private_segment_buffer 1
		.amdhsa_user_sgpr_dispatch_ptr 0
		.amdhsa_user_sgpr_queue_ptr 0
		.amdhsa_user_sgpr_kernarg_segment_ptr 1
		.amdhsa_user_sgpr_dispatch_id 0
		.amdhsa_user_sgpr_flat_scratch_init 0
		.amdhsa_user_sgpr_kernarg_preload_length 0
		.amdhsa_user_sgpr_kernarg_preload_offset 0
		.amdhsa_user_sgpr_private_segment_size 0
		.amdhsa_uses_dynamic_stack 0
		.amdhsa_system_sgpr_private_segment_wavefront_offset 0
		.amdhsa_system_sgpr_workgroup_id_x 1
		.amdhsa_system_sgpr_workgroup_id_y 1
		.amdhsa_system_sgpr_workgroup_id_z 1
		.amdhsa_system_sgpr_workgroup_info 0
		.amdhsa_system_vgpr_workitem_id 0
		.amdhsa_next_free_vgpr 17
		.amdhsa_next_free_sgpr 57
		.amdhsa_accum_offset 20
		.amdhsa_reserve_vcc 1
		.amdhsa_reserve_flat_scratch 0
		.amdhsa_float_round_mode_32 0
		.amdhsa_float_round_mode_16_64 0
		.amdhsa_float_denorm_mode_32 3
		.amdhsa_float_denorm_mode_16_64 3
		.amdhsa_dx10_clamp 1
		.amdhsa_ieee_mode 1
		.amdhsa_fp16_overflow 0
		.amdhsa_tg_split 0
		.amdhsa_exception_fp_ieee_invalid_op 0
		.amdhsa_exception_fp_denorm_src 0
		.amdhsa_exception_fp_ieee_div_zero 0
		.amdhsa_exception_fp_ieee_overflow 0
		.amdhsa_exception_fp_ieee_underflow 0
		.amdhsa_exception_fp_ieee_inexact 0
		.amdhsa_exception_int_div_zero 0
	.end_amdhsa_kernel
	.section	.text._ZN2at6native12_GLOBAL__N_127reflection_pad3d_out_kernelIlEEvN5torch10headeronly6detail27GenericPackedTensorAccessorINS5_14TensorAccessorIN3c108ArrayRefIlEEKT_Lm4ENS4_16DefaultPtrTraitsElEENS_6detail16IndexBoundsCheckILm5ElEESC_Lm5ESD_lEENS6_INS7_ISA_SB_Lm4ESD_lEESH_SB_Lm5ESD_lEElllll,"axG",@progbits,_ZN2at6native12_GLOBAL__N_127reflection_pad3d_out_kernelIlEEvN5torch10headeronly6detail27GenericPackedTensorAccessorINS5_14TensorAccessorIN3c108ArrayRefIlEEKT_Lm4ENS4_16DefaultPtrTraitsElEENS_6detail16IndexBoundsCheckILm5ElEESC_Lm5ESD_lEENS6_INS7_ISA_SB_Lm4ESD_lEESH_SB_Lm5ESD_lEElllll,comdat
.Lfunc_end60:
	.size	_ZN2at6native12_GLOBAL__N_127reflection_pad3d_out_kernelIlEEvN5torch10headeronly6detail27GenericPackedTensorAccessorINS5_14TensorAccessorIN3c108ArrayRefIlEEKT_Lm4ENS4_16DefaultPtrTraitsElEENS_6detail16IndexBoundsCheckILm5ElEESC_Lm5ESD_lEENS6_INS7_ISA_SB_Lm4ESD_lEESH_SB_Lm5ESD_lEElllll, .Lfunc_end60-_ZN2at6native12_GLOBAL__N_127reflection_pad3d_out_kernelIlEEvN5torch10headeronly6detail27GenericPackedTensorAccessorINS5_14TensorAccessorIN3c108ArrayRefIlEEKT_Lm4ENS4_16DefaultPtrTraitsElEENS_6detail16IndexBoundsCheckILm5ElEESC_Lm5ESD_lEENS6_INS7_ISA_SB_Lm4ESD_lEESH_SB_Lm5ESD_lEElllll
                                        ; -- End function
	.section	.AMDGPU.csdata,"",@progbits
; Kernel info:
; codeLenInByte = 3680
; NumSgprs: 61
; NumVgprs: 17
; NumAgprs: 0
; TotalNumVgprs: 17
; ScratchSize: 0
; MemoryBound: 0
; FloatMode: 240
; IeeeMode: 1
; LDSByteSize: 0 bytes/workgroup (compile time only)
; SGPRBlocks: 7
; VGPRBlocks: 2
; NumSGPRsForWavesPerEU: 61
; NumVGPRsForWavesPerEU: 17
; AccumOffset: 20
; Occupancy: 8
; WaveLimiterHint : 0
; COMPUTE_PGM_RSRC2:SCRATCH_EN: 0
; COMPUTE_PGM_RSRC2:USER_SGPR: 6
; COMPUTE_PGM_RSRC2:TRAP_HANDLER: 0
; COMPUTE_PGM_RSRC2:TGID_X_EN: 1
; COMPUTE_PGM_RSRC2:TGID_Y_EN: 1
; COMPUTE_PGM_RSRC2:TGID_Z_EN: 1
; COMPUTE_PGM_RSRC2:TIDIG_COMP_CNT: 0
; COMPUTE_PGM_RSRC3_GFX90A:ACCUM_OFFSET: 4
; COMPUTE_PGM_RSRC3_GFX90A:TG_SPLIT: 0
	.section	.text._ZN2at6native12_GLOBAL__N_127reflection_pad3d_out_kernelIsEEvN5torch10headeronly6detail27GenericPackedTensorAccessorINS5_14TensorAccessorIN3c108ArrayRefIlEEKT_Lm4ENS4_16DefaultPtrTraitsElEENS_6detail16IndexBoundsCheckILm5ElEESC_Lm5ESD_lEENS6_INS7_ISA_SB_Lm4ESD_lEESH_SB_Lm5ESD_lEElllll,"axG",@progbits,_ZN2at6native12_GLOBAL__N_127reflection_pad3d_out_kernelIsEEvN5torch10headeronly6detail27GenericPackedTensorAccessorINS5_14TensorAccessorIN3c108ArrayRefIlEEKT_Lm4ENS4_16DefaultPtrTraitsElEENS_6detail16IndexBoundsCheckILm5ElEESC_Lm5ESD_lEENS6_INS7_ISA_SB_Lm4ESD_lEESH_SB_Lm5ESD_lEElllll,comdat
	.globl	_ZN2at6native12_GLOBAL__N_127reflection_pad3d_out_kernelIsEEvN5torch10headeronly6detail27GenericPackedTensorAccessorINS5_14TensorAccessorIN3c108ArrayRefIlEEKT_Lm4ENS4_16DefaultPtrTraitsElEENS_6detail16IndexBoundsCheckILm5ElEESC_Lm5ESD_lEENS6_INS7_ISA_SB_Lm4ESD_lEESH_SB_Lm5ESD_lEElllll ; -- Begin function _ZN2at6native12_GLOBAL__N_127reflection_pad3d_out_kernelIsEEvN5torch10headeronly6detail27GenericPackedTensorAccessorINS5_14TensorAccessorIN3c108ArrayRefIlEEKT_Lm4ENS4_16DefaultPtrTraitsElEENS_6detail16IndexBoundsCheckILm5ElEESC_Lm5ESD_lEENS6_INS7_ISA_SB_Lm4ESD_lEESH_SB_Lm5ESD_lEElllll
	.p2align	8
	.type	_ZN2at6native12_GLOBAL__N_127reflection_pad3d_out_kernelIsEEvN5torch10headeronly6detail27GenericPackedTensorAccessorINS5_14TensorAccessorIN3c108ArrayRefIlEEKT_Lm4ENS4_16DefaultPtrTraitsElEENS_6detail16IndexBoundsCheckILm5ElEESC_Lm5ESD_lEENS6_INS7_ISA_SB_Lm4ESD_lEESH_SB_Lm5ESD_lEElllll,@function
_ZN2at6native12_GLOBAL__N_127reflection_pad3d_out_kernelIsEEvN5torch10headeronly6detail27GenericPackedTensorAccessorINS5_14TensorAccessorIN3c108ArrayRefIlEEKT_Lm4ENS4_16DefaultPtrTraitsElEENS_6detail16IndexBoundsCheckILm5ElEESC_Lm5ESD_lEENS6_INS7_ISA_SB_Lm4ESD_lEESH_SB_Lm5ESD_lEElllll: ; @_ZN2at6native12_GLOBAL__N_127reflection_pad3d_out_kernelIsEEvN5torch10headeronly6detail27GenericPackedTensorAccessorINS5_14TensorAccessorIN3c108ArrayRefIlEEKT_Lm4ENS4_16DefaultPtrTraitsElEENS_6detail16IndexBoundsCheckILm5ElEESC_Lm5ESD_lEENS6_INS7_ISA_SB_Lm4ESD_lEESH_SB_Lm5ESD_lEElllll
; %bb.0:
	s_load_dword s0, s[4:5], 0xe4
	s_load_dwordx4 s[12:15], s[4:5], 0x70
	s_load_dwordx2 s[10:11], s[4:5], 0x80
	v_mov_b32_e32 v2, 0
	v_mov_b32_e32 v1, v2
	s_waitcnt lgkmcnt(0)
	s_and_b32 s0, s0, 0xffff
	v_mov_b32_e32 v3, s6
	v_mad_u64_u32 v[0:1], s[0:1], s0, v3, v[0:1]
	s_mul_i32 s0, s10, s15
	s_mul_hi_u32 s1, s10, s14
	s_add_i32 s9, s1, s0
	s_mul_i32 s0, s11, s14
	s_mul_i32 s6, s10, s14
	s_add_i32 s9, s9, s0
	s_mul_i32 s0, s6, s13
	s_mul_hi_u32 s1, s6, s12
	s_add_i32 s0, s1, s0
	s_mul_i32 s1, s9, s12
	s_add_i32 s1, s0, s1
	s_mul_i32 s0, s6, s12
	v_cmp_gt_i64_e32 vcc, s[0:1], v[0:1]
	s_and_saveexec_b64 s[0:1], vcc
	s_cbranch_execz .LBB61_14
; %bb.1:
	v_or_b32_e32 v3, s11, v1
	v_cmp_ne_u64_e32 vcc, 0, v[2:3]
                                        ; implicit-def: $vgpr4_vgpr5
	s_and_saveexec_b64 s[0:1], vcc
	s_xor_b64 s[2:3], exec, s[0:1]
	s_cbranch_execz .LBB61_3
; %bb.2:
	s_ashr_i32 s12, s11, 31
	s_add_u32 s0, s10, s12
	s_mov_b32 s13, s12
	s_addc_u32 s1, s11, s12
	s_xor_b64 s[16:17], s[0:1], s[12:13]
	v_cvt_f32_u32_e32 v2, s16
	v_cvt_f32_u32_e32 v3, s17
	s_sub_u32 s0, 0, s16
	s_subb_u32 s1, 0, s17
	v_madmk_f32 v2, v3, 0x4f800000, v2
	v_rcp_f32_e32 v2, v2
	v_mul_f32_e32 v2, 0x5f7ffffc, v2
	v_mul_f32_e32 v3, 0x2f800000, v2
	v_trunc_f32_e32 v3, v3
	v_madmk_f32 v2, v3, 0xcf800000, v2
	v_cvt_u32_f32_e32 v3, v3
	v_cvt_u32_f32_e32 v2, v2
	v_mul_lo_u32 v4, s0, v3
	v_mul_hi_u32 v6, s0, v2
	v_mul_lo_u32 v5, s1, v2
	v_add_u32_e32 v4, v6, v4
	v_mul_lo_u32 v7, s0, v2
	v_add_u32_e32 v4, v4, v5
	v_mul_lo_u32 v6, v2, v4
	v_mul_hi_u32 v8, v2, v7
	v_mul_hi_u32 v5, v2, v4
	v_add_co_u32_e32 v6, vcc, v8, v6
	v_addc_co_u32_e32 v5, vcc, 0, v5, vcc
	v_mul_hi_u32 v9, v3, v7
	v_mul_lo_u32 v7, v3, v7
	v_add_co_u32_e32 v6, vcc, v6, v7
	v_mul_hi_u32 v8, v3, v4
	v_addc_co_u32_e32 v5, vcc, v5, v9, vcc
	v_addc_co_u32_e32 v6, vcc, 0, v8, vcc
	v_mul_lo_u32 v4, v3, v4
	v_add_co_u32_e32 v4, vcc, v5, v4
	v_addc_co_u32_e32 v5, vcc, 0, v6, vcc
	v_add_co_u32_e32 v2, vcc, v2, v4
	v_addc_co_u32_e32 v3, vcc, v3, v5, vcc
	v_mul_lo_u32 v4, s0, v3
	v_mul_hi_u32 v5, s0, v2
	v_add_u32_e32 v4, v5, v4
	v_mul_lo_u32 v5, s1, v2
	v_add_u32_e32 v4, v4, v5
	v_mul_lo_u32 v6, s0, v2
	v_mul_hi_u32 v7, v3, v6
	v_mul_lo_u32 v8, v3, v6
	v_mul_lo_u32 v10, v2, v4
	v_mul_hi_u32 v6, v2, v6
	v_mul_hi_u32 v9, v2, v4
	v_add_co_u32_e32 v6, vcc, v6, v10
	v_addc_co_u32_e32 v9, vcc, 0, v9, vcc
	v_add_co_u32_e32 v6, vcc, v6, v8
	v_mul_hi_u32 v5, v3, v4
	v_addc_co_u32_e32 v6, vcc, v9, v7, vcc
	v_addc_co_u32_e32 v5, vcc, 0, v5, vcc
	v_mul_lo_u32 v4, v3, v4
	v_add_co_u32_e32 v4, vcc, v6, v4
	v_addc_co_u32_e32 v5, vcc, 0, v5, vcc
	v_add_co_u32_e32 v4, vcc, v2, v4
	v_addc_co_u32_e32 v5, vcc, v3, v5, vcc
	v_ashrrev_i32_e32 v6, 31, v1
	v_add_co_u32_e32 v2, vcc, v0, v6
	v_addc_co_u32_e32 v3, vcc, v1, v6, vcc
	v_xor_b32_e32 v8, v2, v6
	v_xor_b32_e32 v7, v3, v6
	v_mad_u64_u32 v[2:3], s[0:1], v8, v5, 0
	v_mul_hi_u32 v9, v8, v4
	v_add_co_u32_e32 v9, vcc, v9, v2
	v_addc_co_u32_e32 v10, vcc, 0, v3, vcc
	v_mad_u64_u32 v[2:3], s[0:1], v7, v5, 0
	v_mad_u64_u32 v[4:5], s[0:1], v7, v4, 0
	v_add_co_u32_e32 v4, vcc, v9, v4
	v_addc_co_u32_e32 v4, vcc, v10, v5, vcc
	v_addc_co_u32_e32 v3, vcc, 0, v3, vcc
	v_add_co_u32_e32 v4, vcc, v4, v2
	v_addc_co_u32_e32 v5, vcc, 0, v3, vcc
	v_mul_lo_u32 v9, s17, v4
	v_mul_lo_u32 v10, s16, v5
	v_mad_u64_u32 v[2:3], s[0:1], s16, v4, 0
	v_add3_u32 v3, v3, v10, v9
	v_sub_u32_e32 v9, v7, v3
	v_mov_b32_e32 v10, s17
	v_sub_co_u32_e32 v2, vcc, v8, v2
	v_subb_co_u32_e64 v8, s[0:1], v9, v10, vcc
	v_subrev_co_u32_e64 v9, s[0:1], s16, v2
	v_subbrev_co_u32_e64 v8, s[0:1], 0, v8, s[0:1]
	v_cmp_le_u32_e64 s[0:1], s17, v8
	v_cndmask_b32_e64 v10, 0, -1, s[0:1]
	v_cmp_le_u32_e64 s[0:1], s16, v9
	v_cndmask_b32_e64 v9, 0, -1, s[0:1]
	v_cmp_eq_u32_e64 s[0:1], s17, v8
	v_cndmask_b32_e64 v8, v10, v9, s[0:1]
	v_add_co_u32_e64 v9, s[0:1], 2, v4
	v_subb_co_u32_e32 v3, vcc, v7, v3, vcc
	v_addc_co_u32_e64 v10, s[0:1], 0, v5, s[0:1]
	v_cmp_le_u32_e32 vcc, s17, v3
	v_add_co_u32_e64 v11, s[0:1], 1, v4
	v_cndmask_b32_e64 v7, 0, -1, vcc
	v_cmp_le_u32_e32 vcc, s16, v2
	v_addc_co_u32_e64 v12, s[0:1], 0, v5, s[0:1]
	v_cndmask_b32_e64 v2, 0, -1, vcc
	v_cmp_eq_u32_e32 vcc, s17, v3
	v_cmp_ne_u32_e64 s[0:1], 0, v8
	v_cndmask_b32_e32 v2, v7, v2, vcc
	v_cndmask_b32_e64 v8, v12, v10, s[0:1]
	v_cmp_ne_u32_e32 vcc, 0, v2
	v_cndmask_b32_e64 v3, v11, v9, s[0:1]
	v_cndmask_b32_e32 v2, v5, v8, vcc
	v_cndmask_b32_e32 v3, v4, v3, vcc
	v_xor_b32_e32 v5, s12, v6
	v_xor_b32_e32 v3, v3, v5
	;; [unrolled: 1-line block ×3, first 2 shown]
	v_sub_co_u32_e32 v4, vcc, v3, v5
	v_subb_co_u32_e32 v5, vcc, v2, v5, vcc
.LBB61_3:
	s_andn2_saveexec_b64 s[0:1], s[2:3]
	s_cbranch_execz .LBB61_5
; %bb.4:
	v_cvt_f32_u32_e32 v2, s10
	s_sub_i32 s2, 0, s10
	v_rcp_iflag_f32_e32 v2, v2
	v_mul_f32_e32 v2, 0x4f7ffffe, v2
	v_cvt_u32_f32_e32 v2, v2
	v_mul_lo_u32 v3, s2, v2
	v_mul_hi_u32 v3, v2, v3
	v_add_u32_e32 v2, v2, v3
	v_mul_hi_u32 v2, v0, v2
	v_mul_lo_u32 v3, v2, s10
	v_sub_u32_e32 v3, v0, v3
	v_add_u32_e32 v4, 1, v2
	v_subrev_u32_e32 v5, s10, v3
	v_cmp_le_u32_e32 vcc, s10, v3
	v_cndmask_b32_e32 v3, v3, v5, vcc
	v_cndmask_b32_e32 v2, v2, v4, vcc
	v_add_u32_e32 v4, 1, v2
	v_cmp_le_u32_e32 vcc, s10, v3
	v_cndmask_b32_e32 v4, v2, v4, vcc
	v_mov_b32_e32 v5, 0
.LBB61_5:
	s_or_b64 exec, exec, s[0:1]
	v_or_b32_e32 v3, s15, v5
	v_mov_b32_e32 v2, 0
	v_cmp_ne_u64_e32 vcc, 0, v[2:3]
                                        ; implicit-def: $vgpr2_vgpr3
	s_and_saveexec_b64 s[0:1], vcc
	s_xor_b64 s[12:13], exec, s[0:1]
	s_cbranch_execz .LBB61_7
; %bb.6:
	s_ashr_i32 s0, s15, 31
	s_add_u32 s2, s14, s0
	s_mov_b32 s1, s0
	s_addc_u32 s3, s15, s0
	s_xor_b64 s[16:17], s[2:3], s[0:1]
	v_cvt_f32_u32_e32 v2, s16
	v_cvt_f32_u32_e32 v3, s17
	s_sub_u32 s0, 0, s16
	s_subb_u32 s1, 0, s17
	v_madmk_f32 v2, v3, 0x4f800000, v2
	v_rcp_f32_e32 v2, v2
	v_mul_f32_e32 v2, 0x5f7ffffc, v2
	v_mul_f32_e32 v3, 0x2f800000, v2
	v_trunc_f32_e32 v3, v3
	v_madmk_f32 v2, v3, 0xcf800000, v2
	v_cvt_u32_f32_e32 v3, v3
	v_cvt_u32_f32_e32 v2, v2
	v_mul_lo_u32 v6, s0, v3
	v_mul_hi_u32 v8, s0, v2
	v_mul_lo_u32 v7, s1, v2
	v_add_u32_e32 v6, v8, v6
	v_mul_lo_u32 v9, s0, v2
	v_add_u32_e32 v6, v6, v7
	v_mul_lo_u32 v8, v2, v6
	v_mul_hi_u32 v10, v2, v9
	v_mul_hi_u32 v7, v2, v6
	v_add_co_u32_e32 v8, vcc, v10, v8
	v_addc_co_u32_e32 v7, vcc, 0, v7, vcc
	v_mul_hi_u32 v11, v3, v9
	v_mul_lo_u32 v9, v3, v9
	v_add_co_u32_e32 v8, vcc, v8, v9
	v_mul_hi_u32 v10, v3, v6
	v_addc_co_u32_e32 v7, vcc, v7, v11, vcc
	v_addc_co_u32_e32 v8, vcc, 0, v10, vcc
	v_mul_lo_u32 v6, v3, v6
	v_add_co_u32_e32 v6, vcc, v7, v6
	v_addc_co_u32_e32 v7, vcc, 0, v8, vcc
	v_add_co_u32_e32 v2, vcc, v2, v6
	v_addc_co_u32_e32 v3, vcc, v3, v7, vcc
	v_mul_lo_u32 v6, s0, v3
	v_mul_hi_u32 v7, s0, v2
	v_add_u32_e32 v6, v7, v6
	v_mul_lo_u32 v7, s1, v2
	v_add_u32_e32 v6, v6, v7
	v_mul_lo_u32 v8, s0, v2
	v_mul_hi_u32 v9, v3, v8
	v_mul_lo_u32 v10, v3, v8
	v_mul_lo_u32 v12, v2, v6
	v_mul_hi_u32 v8, v2, v8
	v_mul_hi_u32 v11, v2, v6
	v_add_co_u32_e32 v8, vcc, v8, v12
	v_addc_co_u32_e32 v11, vcc, 0, v11, vcc
	v_add_co_u32_e32 v8, vcc, v8, v10
	v_mul_hi_u32 v7, v3, v6
	v_addc_co_u32_e32 v8, vcc, v11, v9, vcc
	v_addc_co_u32_e32 v7, vcc, 0, v7, vcc
	v_mul_lo_u32 v6, v3, v6
	v_add_co_u32_e32 v6, vcc, v8, v6
	v_addc_co_u32_e32 v7, vcc, 0, v7, vcc
	v_add_co_u32_e32 v6, vcc, v2, v6
	v_addc_co_u32_e32 v7, vcc, v3, v7, vcc
	v_ashrrev_i32_e32 v8, 31, v5
	v_add_co_u32_e32 v2, vcc, v4, v8
	v_addc_co_u32_e32 v3, vcc, v5, v8, vcc
	v_xor_b32_e32 v10, v2, v8
	v_xor_b32_e32 v9, v3, v8
	v_mad_u64_u32 v[2:3], s[0:1], v10, v7, 0
	v_mul_hi_u32 v11, v10, v6
	v_add_co_u32_e32 v11, vcc, v11, v2
	v_addc_co_u32_e32 v12, vcc, 0, v3, vcc
	v_mad_u64_u32 v[2:3], s[0:1], v9, v7, 0
	v_mad_u64_u32 v[6:7], s[0:1], v9, v6, 0
	v_add_co_u32_e32 v6, vcc, v11, v6
	v_addc_co_u32_e32 v6, vcc, v12, v7, vcc
	v_addc_co_u32_e32 v3, vcc, 0, v3, vcc
	v_add_co_u32_e32 v2, vcc, v6, v2
	v_addc_co_u32_e32 v3, vcc, 0, v3, vcc
	v_mul_lo_u32 v6, s17, v2
	v_mul_lo_u32 v7, s16, v3
	v_mad_u64_u32 v[2:3], s[0:1], s16, v2, 0
	v_add3_u32 v3, v3, v7, v6
	v_sub_u32_e32 v6, v9, v3
	v_mov_b32_e32 v7, s17
	v_sub_co_u32_e32 v2, vcc, v10, v2
	v_subb_co_u32_e64 v6, s[0:1], v6, v7, vcc
	v_subrev_co_u32_e64 v10, s[0:1], s16, v2
	v_subbrev_co_u32_e64 v11, s[2:3], 0, v6, s[0:1]
	v_cmp_le_u32_e64 s[2:3], s17, v11
	v_cndmask_b32_e64 v12, 0, -1, s[2:3]
	v_cmp_le_u32_e64 s[2:3], s16, v10
	v_subb_co_u32_e64 v6, s[0:1], v6, v7, s[0:1]
	v_cndmask_b32_e64 v13, 0, -1, s[2:3]
	v_cmp_eq_u32_e64 s[2:3], s17, v11
	v_subrev_co_u32_e64 v7, s[0:1], s16, v10
	v_subb_co_u32_e32 v3, vcc, v9, v3, vcc
	v_cndmask_b32_e64 v12, v12, v13, s[2:3]
	v_subbrev_co_u32_e64 v6, s[0:1], 0, v6, s[0:1]
	v_cmp_le_u32_e32 vcc, s17, v3
	v_cmp_ne_u32_e64 s[0:1], 0, v12
	v_cndmask_b32_e64 v9, 0, -1, vcc
	v_cmp_le_u32_e32 vcc, s16, v2
	v_cndmask_b32_e64 v6, v11, v6, s[0:1]
	v_cndmask_b32_e64 v11, 0, -1, vcc
	v_cmp_eq_u32_e32 vcc, s17, v3
	v_cndmask_b32_e32 v9, v9, v11, vcc
	v_cmp_ne_u32_e32 vcc, 0, v9
	v_cndmask_b32_e32 v3, v3, v6, vcc
	v_cndmask_b32_e64 v6, v10, v7, s[0:1]
	v_cndmask_b32_e32 v2, v2, v6, vcc
	v_xor_b32_e32 v2, v2, v8
	v_xor_b32_e32 v3, v3, v8
	v_sub_co_u32_e32 v2, vcc, v2, v8
	v_subb_co_u32_e32 v3, vcc, v3, v8, vcc
.LBB61_7:
	s_or_saveexec_b64 s[0:1], s[12:13]
	s_load_dwordx2 s[2:3], s[4:5], 0xa8
	s_load_dwordx8 s[36:43], s[4:5], 0x88
	s_xor_b64 exec, exec, s[0:1]
	s_cbranch_execz .LBB61_9
; %bb.8:
	v_cvt_f32_u32_e32 v2, s14
	s_sub_i32 s12, 0, s14
	v_rcp_iflag_f32_e32 v2, v2
	v_mul_f32_e32 v2, 0x4f7ffffe, v2
	v_cvt_u32_f32_e32 v2, v2
	v_mul_lo_u32 v3, s12, v2
	v_mul_hi_u32 v3, v2, v3
	v_add_u32_e32 v2, v2, v3
	v_mul_hi_u32 v2, v4, v2
	v_mul_lo_u32 v2, v2, s14
	v_sub_u32_e32 v2, v4, v2
	v_subrev_u32_e32 v3, s14, v2
	v_cmp_le_u32_e32 vcc, s14, v2
	v_cndmask_b32_e32 v2, v2, v3, vcc
	v_subrev_u32_e32 v3, s14, v2
	v_cmp_le_u32_e32 vcc, s14, v2
	v_cndmask_b32_e32 v2, v2, v3, vcc
	v_mov_b32_e32 v3, 0
.LBB61_9:
	s_or_b64 exec, exec, s[0:1]
	s_load_dwordx2 s[28:29], s[4:5], 0x58
	s_load_dwordx2 s[30:31], s[4:5], 0x0
	v_or_b32_e32 v7, s9, v1
	v_mov_b32_e32 v6, 0
	v_cmp_ne_u64_e32 vcc, 0, v[6:7]
                                        ; implicit-def: $vgpr6_vgpr7
	s_and_saveexec_b64 s[0:1], vcc
	s_xor_b64 s[12:13], exec, s[0:1]
	s_cbranch_execz .LBB61_11
; %bb.10:
	s_ashr_i32 s14, s9, 31
	s_add_u32 s0, s6, s14
	s_mov_b32 s15, s14
	s_addc_u32 s1, s9, s14
	s_xor_b64 s[16:17], s[0:1], s[14:15]
	v_cvt_f32_u32_e32 v6, s16
	v_cvt_f32_u32_e32 v7, s17
	s_sub_u32 s0, 0, s16
	s_subb_u32 s1, 0, s17
	v_madmk_f32 v6, v7, 0x4f800000, v6
	v_rcp_f32_e32 v6, v6
	v_mul_f32_e32 v6, 0x5f7ffffc, v6
	v_mul_f32_e32 v7, 0x2f800000, v6
	v_trunc_f32_e32 v7, v7
	v_madmk_f32 v6, v7, 0xcf800000, v6
	v_cvt_u32_f32_e32 v7, v7
	v_cvt_u32_f32_e32 v6, v6
	v_mul_lo_u32 v8, s0, v7
	v_mul_hi_u32 v10, s0, v6
	v_mul_lo_u32 v9, s1, v6
	v_add_u32_e32 v8, v10, v8
	v_mul_lo_u32 v11, s0, v6
	v_add_u32_e32 v8, v8, v9
	v_mul_lo_u32 v10, v6, v8
	v_mul_hi_u32 v12, v6, v11
	v_mul_hi_u32 v9, v6, v8
	v_add_co_u32_e32 v10, vcc, v12, v10
	v_addc_co_u32_e32 v9, vcc, 0, v9, vcc
	v_mul_hi_u32 v13, v7, v11
	v_mul_lo_u32 v11, v7, v11
	v_add_co_u32_e32 v10, vcc, v10, v11
	v_mul_hi_u32 v12, v7, v8
	v_addc_co_u32_e32 v9, vcc, v9, v13, vcc
	v_addc_co_u32_e32 v10, vcc, 0, v12, vcc
	v_mul_lo_u32 v8, v7, v8
	v_add_co_u32_e32 v8, vcc, v9, v8
	v_addc_co_u32_e32 v9, vcc, 0, v10, vcc
	v_add_co_u32_e32 v6, vcc, v6, v8
	v_addc_co_u32_e32 v7, vcc, v7, v9, vcc
	v_mul_lo_u32 v8, s0, v7
	v_mul_hi_u32 v9, s0, v6
	v_add_u32_e32 v8, v9, v8
	v_mul_lo_u32 v9, s1, v6
	v_add_u32_e32 v8, v8, v9
	v_mul_lo_u32 v10, s0, v6
	v_mul_hi_u32 v11, v7, v10
	v_mul_lo_u32 v12, v7, v10
	v_mul_lo_u32 v14, v6, v8
	v_mul_hi_u32 v10, v6, v10
	v_mul_hi_u32 v13, v6, v8
	v_add_co_u32_e32 v10, vcc, v10, v14
	v_addc_co_u32_e32 v13, vcc, 0, v13, vcc
	v_add_co_u32_e32 v10, vcc, v10, v12
	v_mul_hi_u32 v9, v7, v8
	v_addc_co_u32_e32 v10, vcc, v13, v11, vcc
	v_addc_co_u32_e32 v9, vcc, 0, v9, vcc
	v_mul_lo_u32 v8, v7, v8
	v_add_co_u32_e32 v8, vcc, v10, v8
	v_addc_co_u32_e32 v9, vcc, 0, v9, vcc
	v_add_co_u32_e32 v8, vcc, v6, v8
	v_addc_co_u32_e32 v9, vcc, v7, v9, vcc
	v_ashrrev_i32_e32 v10, 31, v1
	v_add_co_u32_e32 v6, vcc, v0, v10
	v_addc_co_u32_e32 v7, vcc, v1, v10, vcc
	v_xor_b32_e32 v12, v6, v10
	v_xor_b32_e32 v11, v7, v10
	v_mad_u64_u32 v[6:7], s[0:1], v12, v9, 0
	v_mul_hi_u32 v13, v12, v8
	v_add_co_u32_e32 v13, vcc, v13, v6
	v_addc_co_u32_e32 v14, vcc, 0, v7, vcc
	v_mad_u64_u32 v[6:7], s[0:1], v11, v9, 0
	v_mad_u64_u32 v[8:9], s[0:1], v11, v8, 0
	v_add_co_u32_e32 v8, vcc, v13, v8
	v_addc_co_u32_e32 v8, vcc, v14, v9, vcc
	v_addc_co_u32_e32 v7, vcc, 0, v7, vcc
	v_add_co_u32_e32 v8, vcc, v8, v6
	v_addc_co_u32_e32 v9, vcc, 0, v7, vcc
	v_mul_lo_u32 v13, s17, v8
	v_mul_lo_u32 v14, s16, v9
	v_mad_u64_u32 v[6:7], s[0:1], s16, v8, 0
	v_add3_u32 v7, v7, v14, v13
	v_sub_u32_e32 v13, v11, v7
	v_mov_b32_e32 v14, s17
	v_sub_co_u32_e32 v6, vcc, v12, v6
	v_subb_co_u32_e64 v12, s[0:1], v13, v14, vcc
	v_subrev_co_u32_e64 v13, s[0:1], s16, v6
	v_subbrev_co_u32_e64 v12, s[0:1], 0, v12, s[0:1]
	v_cmp_le_u32_e64 s[0:1], s17, v12
	v_cndmask_b32_e64 v14, 0, -1, s[0:1]
	v_cmp_le_u32_e64 s[0:1], s16, v13
	v_cndmask_b32_e64 v13, 0, -1, s[0:1]
	v_cmp_eq_u32_e64 s[0:1], s17, v12
	v_cndmask_b32_e64 v12, v14, v13, s[0:1]
	v_add_co_u32_e64 v13, s[0:1], 2, v8
	v_subb_co_u32_e32 v7, vcc, v11, v7, vcc
	v_addc_co_u32_e64 v14, s[0:1], 0, v9, s[0:1]
	v_cmp_le_u32_e32 vcc, s17, v7
	v_add_co_u32_e64 v15, s[0:1], 1, v8
	v_cndmask_b32_e64 v11, 0, -1, vcc
	v_cmp_le_u32_e32 vcc, s16, v6
	v_addc_co_u32_e64 v16, s[0:1], 0, v9, s[0:1]
	v_cndmask_b32_e64 v6, 0, -1, vcc
	v_cmp_eq_u32_e32 vcc, s17, v7
	v_cmp_ne_u32_e64 s[0:1], 0, v12
	v_cndmask_b32_e32 v6, v11, v6, vcc
	v_cndmask_b32_e64 v12, v16, v14, s[0:1]
	v_cmp_ne_u32_e32 vcc, 0, v6
	v_cndmask_b32_e64 v7, v15, v13, s[0:1]
	v_cndmask_b32_e32 v6, v9, v12, vcc
	v_cndmask_b32_e32 v7, v8, v7, vcc
	v_xor_b32_e32 v8, s14, v10
	v_xor_b32_e32 v9, v6, v8
	;; [unrolled: 1-line block ×3, first 2 shown]
	v_sub_co_u32_e32 v6, vcc, v6, v8
	v_subb_co_u32_e32 v7, vcc, v9, v8, vcc
.LBB61_11:
	s_or_saveexec_b64 s[0:1], s[12:13]
	s_load_dwordx16 s[12:27], s[4:5], 0x18
	s_xor_b64 exec, exec, s[0:1]
	s_cbranch_execz .LBB61_13
; %bb.12:
	v_cvt_f32_u32_e32 v6, s6
	s_sub_i32 s9, 0, s6
	v_rcp_iflag_f32_e32 v6, v6
	v_mul_f32_e32 v6, 0x4f7ffffe, v6
	v_cvt_u32_f32_e32 v6, v6
	v_mul_lo_u32 v7, s9, v6
	v_mul_hi_u32 v7, v6, v7
	v_add_u32_e32 v6, v6, v7
	v_mul_hi_u32 v6, v0, v6
	v_mul_lo_u32 v7, v6, s6
	v_sub_u32_e32 v7, v0, v7
	v_add_u32_e32 v8, 1, v6
	v_subrev_u32_e32 v9, s6, v7
	v_cmp_le_u32_e32 vcc, s6, v7
	v_cndmask_b32_e32 v7, v7, v9, vcc
	v_cndmask_b32_e32 v6, v6, v8, vcc
	v_add_u32_e32 v8, 1, v6
	v_cmp_le_u32_e32 vcc, s6, v7
	v_cndmask_b32_e32 v6, v6, v8, vcc
	v_mov_b32_e32 v7, 0
.LBB61_13:
	s_or_b64 exec, exec, s[0:1]
	s_load_dwordx8 s[44:51], s[4:5], 0xb0
	v_mul_lo_u32 v8, v5, s10
	v_mul_lo_u32 v9, v4, s11
	v_mad_u64_u32 v[4:5], s[0:1], v4, s10, 0
	s_load_dwordx2 s[0:1], s[4:5], 0xd0
	s_waitcnt lgkmcnt(0)
	s_sub_u32 s4, 0, s44
	s_subb_u32 s5, 0, s45
	s_sub_u32 s10, 0, s46
	s_subb_u32 s11, 0, s47
	;; [unrolled: 2-line block ×3, first 2 shown]
	v_cmp_gt_i64_e64 s[52:53], s[4:5], 0
	s_and_b64 s[52:53], s[52:53], exec
	s_cselect_b32 s6, s5, 0
	s_cselect_b32 s9, s4, 0
	v_cmp_gt_i64_e64 s[4:5], s[44:45], 0
	s_and_b64 s[4:5], s[4:5], exec
	v_cmp_gt_i64_e64 s[4:5], s[10:11], 0
	s_cselect_b32 s53, s45, 0
	s_cselect_b32 s52, s44, 0
	s_and_b64 s[4:5], s[4:5], exec
	v_add3_u32 v5, v5, v9, v8
	v_sub_co_u32_e32 v0, vcc, v0, v4
	v_cmp_gt_i64_e64 s[4:5], s[46:47], 0
	v_subb_co_u32_e32 v1, vcc, v1, v5, vcc
	s_cselect_b32 s33, s11, 0
	s_cselect_b32 s54, s10, 0
	s_and_b64 s[4:5], s[4:5], exec
	v_cmp_gt_i64_e64 s[4:5], s[34:35], 0
	v_mov_b32_e32 v5, s45
	v_subrev_co_u32_e32 v4, vcc, s44, v0
	s_cselect_b32 s11, s47, 0
	s_cselect_b32 s10, s46, 0
	s_and_b64 s[4:5], s[4:5], exec
	v_subb_co_u32_e32 v5, vcc, v1, v5, vcc
	v_cmp_gt_i64_e64 s[4:5], s[48:49], 0
	v_ashrrev_i32_e32 v8, 31, v5
	s_cselect_b32 s55, s35, 0
	s_cselect_b32 s56, s34, 0
	s_and_b64 s[4:5], s[4:5], exec
	v_xor_b32_e32 v4, v4, v8
	s_cselect_b32 s5, s49, 0
	s_cselect_b32 s4, s48, 0
	v_xor_b32_e32 v5, v5, v8
	v_sub_co_u32_e32 v9, vcc, v4, v8
	s_add_u32 s34, s16, s44
	v_subb_co_u32_e32 v8, vcc, v5, v8, vcc
	s_addc_u32 s35, s17, s45
	v_mov_b32_e32 v5, s35
	v_subrev_co_u32_e32 v4, vcc, s34, v0
	v_subb_co_u32_e32 v5, vcc, v1, v5, vcc
	v_add_co_u32_e32 v4, vcc, 1, v4
	v_addc_co_u32_e32 v5, vcc, 0, v5, vcc
	s_lshl_b64 s[34:35], s[44:45], 1
	s_not_b64 s[44:45], s[52:53]
	v_ashrrev_i32_e32 v10, 31, v5
	s_add_u32 s34, s34, s44
	v_xor_b32_e32 v4, v4, v10
	s_addc_u32 s35, s35, s45
	v_xor_b32_e32 v5, v5, v10
	v_sub_co_u32_e32 v4, vcc, v4, v10
	s_add_u32 s9, s34, s9
	v_subb_co_u32_e32 v5, vcc, v5, v10, vcc
	s_addc_u32 s6, s35, s6
	s_add_u32 s9, s9, s16
	v_add_co_u32_e32 v4, vcc, v0, v4
	s_addc_u32 s6, s6, s17
	v_addc_co_u32_e32 v5, vcc, v1, v5, vcc
	v_mov_b32_e32 v10, s6
	v_sub_co_u32_e32 v4, vcc, s9, v4
	v_subb_co_u32_e32 v5, vcc, v10, v5, vcc
	v_add_co_u32_e32 v9, vcc, v4, v9
	v_addc_co_u32_e32 v8, vcc, v5, v8, vcc
	v_mov_b32_e32 v4, s47
	v_subrev_co_u32_e32 v5, vcc, s46, v2
	v_subb_co_u32_e32 v4, vcc, v3, v4, vcc
	v_ashrrev_i32_e32 v10, 31, v4
	v_xor_b32_e32 v5, v5, v10
	v_xor_b32_e32 v4, v4, v10
	v_sub_co_u32_e32 v5, vcc, v5, v10
	s_add_u32 s6, s14, s46
	v_subb_co_u32_e32 v4, vcc, v4, v10, vcc
	s_addc_u32 s9, s15, s47
	v_mov_b32_e32 v10, s9
	v_subrev_co_u32_e32 v11, vcc, s6, v2
	v_subb_co_u32_e32 v10, vcc, v3, v10, vcc
	v_add_co_u32_e32 v11, vcc, 1, v11
	v_addc_co_u32_e32 v10, vcc, 0, v10, vcc
	s_lshl_b64 s[16:17], s[46:47], 1
	s_not_b64 s[10:11], s[10:11]
	v_ashrrev_i32_e32 v12, 31, v10
	s_add_u32 s6, s16, s10
	v_xor_b32_e32 v11, v11, v12
	s_addc_u32 s9, s17, s11
	v_xor_b32_e32 v10, v10, v12
	v_sub_co_u32_e32 v11, vcc, v11, v12
	s_add_u32 s6, s6, s54
	v_subb_co_u32_e32 v10, vcc, v10, v12, vcc
	s_addc_u32 s9, s9, s33
	s_add_u32 s6, s6, s14
	v_add_co_u32_e32 v11, vcc, v2, v11
	s_addc_u32 s9, s9, s15
	v_addc_co_u32_e32 v10, vcc, v3, v10, vcc
	v_mov_b32_e32 v12, s9
	v_sub_co_u32_e32 v11, vcc, s6, v11
	v_subb_co_u32_e32 v10, vcc, v12, v10, vcc
	v_add_co_u32_e32 v11, vcc, v11, v5
	v_addc_co_u32_e32 v10, vcc, v10, v4, vcc
	v_mov_b32_e32 v4, s49
	v_subrev_co_u32_e32 v5, vcc, s48, v6
	v_subb_co_u32_e32 v4, vcc, v7, v4, vcc
	v_ashrrev_i32_e32 v12, 31, v4
	v_xor_b32_e32 v5, v5, v12
	v_xor_b32_e32 v4, v4, v12
	v_sub_co_u32_e32 v5, vcc, v5, v12
	s_add_u32 s6, s12, s48
	v_subb_co_u32_e32 v4, vcc, v4, v12, vcc
	s_addc_u32 s9, s13, s49
	v_mov_b32_e32 v12, s9
	v_subrev_co_u32_e32 v13, vcc, s6, v6
	v_subb_co_u32_e32 v12, vcc, v7, v12, vcc
	v_add_co_u32_e32 v13, vcc, 1, v13
	v_addc_co_u32_e32 v12, vcc, 0, v12, vcc
	s_lshl_b64 s[10:11], s[48:49], 1
	s_not_b64 s[4:5], s[4:5]
	v_ashrrev_i32_e32 v14, 31, v12
	s_add_u32 s4, s10, s4
	v_xor_b32_e32 v13, v13, v14
	s_addc_u32 s5, s11, s5
	v_xor_b32_e32 v12, v12, v14
	v_sub_co_u32_e32 v13, vcc, v13, v14
	s_add_u32 s4, s4, s56
	v_subb_co_u32_e32 v12, vcc, v12, v14, vcc
	s_addc_u32 s5, s5, s55
	s_add_u32 s4, s4, s12
	v_add_co_u32_e32 v13, vcc, v6, v13
	s_addc_u32 s5, s5, s13
	v_addc_co_u32_e32 v12, vcc, v7, v12, vcc
	v_sub_co_u32_e32 v13, vcc, s4, v13
	s_add_u32 s4, s7, s50
	v_mov_b32_e32 v14, s5
	s_addc_u32 s5, 0, s51
	s_add_u32 s6, s8, s0
	s_addc_u32 s7, 0, s1
	s_mul_i32 s0, s18, s7
	s_mul_hi_u32 s1, s18, s6
	s_add_i32 s0, s1, s0
	s_mul_i32 s1, s19, s6
	s_add_i32 s1, s0, s1
	s_mul_i32 s0, s18, s6
	s_lshl_b64 s[0:1], s[0:1], 1
	s_add_u32 s8, s30, s0
	s_addc_u32 s9, s31, s1
	s_mul_i32 s0, s20, s5
	s_mul_hi_u32 s1, s20, s4
	s_add_i32 s0, s1, s0
	s_mul_i32 s1, s21, s4
	v_subb_co_u32_e32 v12, vcc, v14, v12, vcc
	s_add_i32 s1, s0, s1
	s_mul_i32 s0, s20, s4
	v_add_co_u32_e32 v5, vcc, v13, v5
	s_lshl_b64 s[0:1], s[0:1], 1
	v_addc_co_u32_e32 v4, vcc, v12, v4, vcc
	s_add_u32 s8, s8, s0
	s_addc_u32 s9, s9, s1
	v_mul_lo_u32 v12, v4, s22
	v_mul_lo_u32 v13, v5, s23
	v_mad_u64_u32 v[4:5], s[0:1], v5, s22, 0
	v_add3_u32 v5, v5, v13, v12
	v_lshlrev_b64 v[4:5], 1, v[4:5]
	v_mov_b32_e32 v12, s9
	v_add_co_u32_e32 v13, vcc, s8, v4
	v_addc_co_u32_e32 v12, vcc, v12, v5, vcc
	v_mul_lo_u32 v10, v10, s24
	v_mul_lo_u32 v14, v11, s25
	v_mad_u64_u32 v[4:5], s[0:1], v11, s24, 0
	v_add3_u32 v5, v5, v14, v10
	v_lshlrev_b64 v[4:5], 1, v[4:5]
	v_add_co_u32_e32 v10, vcc, v13, v4
	v_addc_co_u32_e32 v11, vcc, v12, v5, vcc
	v_mul_lo_u32 v8, v8, s26
	v_mul_lo_u32 v12, v9, s27
	v_mad_u64_u32 v[4:5], s[0:1], v9, s26, 0
	v_add3_u32 v5, v5, v12, v8
	v_lshlrev_b64 v[4:5], 1, v[4:5]
	v_add_co_u32_e32 v4, vcc, v10, v4
	v_addc_co_u32_e32 v5, vcc, v11, v5, vcc
	global_load_ushort v8, v[4:5], off
	s_mul_i32 s0, s36, s7
	s_mul_hi_u32 s1, s36, s6
	s_add_i32 s0, s1, s0
	s_mul_i32 s1, s37, s6
	s_add_i32 s1, s0, s1
	s_mul_i32 s0, s36, s6
	s_lshl_b64 s[0:1], s[0:1], 1
	s_add_u32 s6, s28, s0
	s_addc_u32 s7, s29, s1
	s_mul_i32 s0, s38, s5
	s_mul_hi_u32 s1, s38, s4
	s_add_i32 s0, s1, s0
	s_mul_i32 s1, s39, s4
	s_add_i32 s1, s0, s1
	s_mul_i32 s0, s38, s4
	s_lshl_b64 s[0:1], s[0:1], 1
	s_add_u32 s4, s6, s0
	s_addc_u32 s5, s7, s1
	v_mul_lo_u32 v7, v7, s40
	v_mul_lo_u32 v9, v6, s41
	v_mad_u64_u32 v[4:5], s[0:1], v6, s40, 0
	v_add3_u32 v5, v5, v9, v7
	v_lshlrev_b64 v[4:5], 1, v[4:5]
	v_mov_b32_e32 v6, s5
	v_add_co_u32_e32 v4, vcc, s4, v4
	v_addc_co_u32_e32 v5, vcc, v6, v5, vcc
	v_mul_lo_u32 v6, v3, s42
	v_mul_lo_u32 v7, v2, s43
	v_mad_u64_u32 v[2:3], s[0:1], v2, s42, 0
	v_add3_u32 v3, v3, v7, v6
	v_lshlrev_b64 v[2:3], 1, v[2:3]
	v_add_co_u32_e32 v2, vcc, v4, v2
	v_addc_co_u32_e32 v3, vcc, v5, v3, vcc
	v_mul_lo_u32 v4, v1, s2
	v_mul_lo_u32 v5, v0, s3
	v_mad_u64_u32 v[0:1], s[0:1], v0, s2, 0
	v_add3_u32 v1, v1, v5, v4
	v_lshlrev_b64 v[0:1], 1, v[0:1]
	v_add_co_u32_e32 v0, vcc, v2, v0
	v_addc_co_u32_e32 v1, vcc, v3, v1, vcc
	s_waitcnt vmcnt(0)
	global_store_short v[0:1], v8, off
.LBB61_14:
	s_endpgm
	.section	.rodata,"a",@progbits
	.p2align	6, 0x0
	.amdhsa_kernel _ZN2at6native12_GLOBAL__N_127reflection_pad3d_out_kernelIsEEvN5torch10headeronly6detail27GenericPackedTensorAccessorINS5_14TensorAccessorIN3c108ArrayRefIlEEKT_Lm4ENS4_16DefaultPtrTraitsElEENS_6detail16IndexBoundsCheckILm5ElEESC_Lm5ESD_lEENS6_INS7_ISA_SB_Lm4ESD_lEESH_SB_Lm5ESD_lEElllll
		.amdhsa_group_segment_fixed_size 0
		.amdhsa_private_segment_fixed_size 0
		.amdhsa_kernarg_size 472
		.amdhsa_user_sgpr_count 6
		.amdhsa_user_sgpr_private_segment_buffer 1
		.amdhsa_user_sgpr_dispatch_ptr 0
		.amdhsa_user_sgpr_queue_ptr 0
		.amdhsa_user_sgpr_kernarg_segment_ptr 1
		.amdhsa_user_sgpr_dispatch_id 0
		.amdhsa_user_sgpr_flat_scratch_init 0
		.amdhsa_user_sgpr_kernarg_preload_length 0
		.amdhsa_user_sgpr_kernarg_preload_offset 0
		.amdhsa_user_sgpr_private_segment_size 0
		.amdhsa_uses_dynamic_stack 0
		.amdhsa_system_sgpr_private_segment_wavefront_offset 0
		.amdhsa_system_sgpr_workgroup_id_x 1
		.amdhsa_system_sgpr_workgroup_id_y 1
		.amdhsa_system_sgpr_workgroup_id_z 1
		.amdhsa_system_sgpr_workgroup_info 0
		.amdhsa_system_vgpr_workitem_id 0
		.amdhsa_next_free_vgpr 17
		.amdhsa_next_free_sgpr 57
		.amdhsa_accum_offset 20
		.amdhsa_reserve_vcc 1
		.amdhsa_reserve_flat_scratch 0
		.amdhsa_float_round_mode_32 0
		.amdhsa_float_round_mode_16_64 0
		.amdhsa_float_denorm_mode_32 3
		.amdhsa_float_denorm_mode_16_64 3
		.amdhsa_dx10_clamp 1
		.amdhsa_ieee_mode 1
		.amdhsa_fp16_overflow 0
		.amdhsa_tg_split 0
		.amdhsa_exception_fp_ieee_invalid_op 0
		.amdhsa_exception_fp_denorm_src 0
		.amdhsa_exception_fp_ieee_div_zero 0
		.amdhsa_exception_fp_ieee_overflow 0
		.amdhsa_exception_fp_ieee_underflow 0
		.amdhsa_exception_fp_ieee_inexact 0
		.amdhsa_exception_int_div_zero 0
	.end_amdhsa_kernel
	.section	.text._ZN2at6native12_GLOBAL__N_127reflection_pad3d_out_kernelIsEEvN5torch10headeronly6detail27GenericPackedTensorAccessorINS5_14TensorAccessorIN3c108ArrayRefIlEEKT_Lm4ENS4_16DefaultPtrTraitsElEENS_6detail16IndexBoundsCheckILm5ElEESC_Lm5ESD_lEENS6_INS7_ISA_SB_Lm4ESD_lEESH_SB_Lm5ESD_lEElllll,"axG",@progbits,_ZN2at6native12_GLOBAL__N_127reflection_pad3d_out_kernelIsEEvN5torch10headeronly6detail27GenericPackedTensorAccessorINS5_14TensorAccessorIN3c108ArrayRefIlEEKT_Lm4ENS4_16DefaultPtrTraitsElEENS_6detail16IndexBoundsCheckILm5ElEESC_Lm5ESD_lEENS6_INS7_ISA_SB_Lm4ESD_lEESH_SB_Lm5ESD_lEElllll,comdat
.Lfunc_end61:
	.size	_ZN2at6native12_GLOBAL__N_127reflection_pad3d_out_kernelIsEEvN5torch10headeronly6detail27GenericPackedTensorAccessorINS5_14TensorAccessorIN3c108ArrayRefIlEEKT_Lm4ENS4_16DefaultPtrTraitsElEENS_6detail16IndexBoundsCheckILm5ElEESC_Lm5ESD_lEENS6_INS7_ISA_SB_Lm4ESD_lEESH_SB_Lm5ESD_lEElllll, .Lfunc_end61-_ZN2at6native12_GLOBAL__N_127reflection_pad3d_out_kernelIsEEvN5torch10headeronly6detail27GenericPackedTensorAccessorINS5_14TensorAccessorIN3c108ArrayRefIlEEKT_Lm4ENS4_16DefaultPtrTraitsElEENS_6detail16IndexBoundsCheckILm5ElEESC_Lm5ESD_lEENS6_INS7_ISA_SB_Lm4ESD_lEESH_SB_Lm5ESD_lEElllll
                                        ; -- End function
	.section	.AMDGPU.csdata,"",@progbits
; Kernel info:
; codeLenInByte = 3680
; NumSgprs: 61
; NumVgprs: 17
; NumAgprs: 0
; TotalNumVgprs: 17
; ScratchSize: 0
; MemoryBound: 0
; FloatMode: 240
; IeeeMode: 1
; LDSByteSize: 0 bytes/workgroup (compile time only)
; SGPRBlocks: 7
; VGPRBlocks: 2
; NumSGPRsForWavesPerEU: 61
; NumVGPRsForWavesPerEU: 17
; AccumOffset: 20
; Occupancy: 8
; WaveLimiterHint : 0
; COMPUTE_PGM_RSRC2:SCRATCH_EN: 0
; COMPUTE_PGM_RSRC2:USER_SGPR: 6
; COMPUTE_PGM_RSRC2:TRAP_HANDLER: 0
; COMPUTE_PGM_RSRC2:TGID_X_EN: 1
; COMPUTE_PGM_RSRC2:TGID_Y_EN: 1
; COMPUTE_PGM_RSRC2:TGID_Z_EN: 1
; COMPUTE_PGM_RSRC2:TIDIG_COMP_CNT: 0
; COMPUTE_PGM_RSRC3_GFX90A:ACCUM_OFFSET: 4
; COMPUTE_PGM_RSRC3_GFX90A:TG_SPLIT: 0
	.section	.text._ZN2at6native12_GLOBAL__N_127reflection_pad3d_out_kernelIdEEvN5torch10headeronly6detail27GenericPackedTensorAccessorINS5_14TensorAccessorIN3c108ArrayRefIlEEKT_Lm4ENS4_16DefaultPtrTraitsElEENS_6detail16IndexBoundsCheckILm5ElEESC_Lm5ESD_lEENS6_INS7_ISA_SB_Lm4ESD_lEESH_SB_Lm5ESD_lEElllll,"axG",@progbits,_ZN2at6native12_GLOBAL__N_127reflection_pad3d_out_kernelIdEEvN5torch10headeronly6detail27GenericPackedTensorAccessorINS5_14TensorAccessorIN3c108ArrayRefIlEEKT_Lm4ENS4_16DefaultPtrTraitsElEENS_6detail16IndexBoundsCheckILm5ElEESC_Lm5ESD_lEENS6_INS7_ISA_SB_Lm4ESD_lEESH_SB_Lm5ESD_lEElllll,comdat
	.globl	_ZN2at6native12_GLOBAL__N_127reflection_pad3d_out_kernelIdEEvN5torch10headeronly6detail27GenericPackedTensorAccessorINS5_14TensorAccessorIN3c108ArrayRefIlEEKT_Lm4ENS4_16DefaultPtrTraitsElEENS_6detail16IndexBoundsCheckILm5ElEESC_Lm5ESD_lEENS6_INS7_ISA_SB_Lm4ESD_lEESH_SB_Lm5ESD_lEElllll ; -- Begin function _ZN2at6native12_GLOBAL__N_127reflection_pad3d_out_kernelIdEEvN5torch10headeronly6detail27GenericPackedTensorAccessorINS5_14TensorAccessorIN3c108ArrayRefIlEEKT_Lm4ENS4_16DefaultPtrTraitsElEENS_6detail16IndexBoundsCheckILm5ElEESC_Lm5ESD_lEENS6_INS7_ISA_SB_Lm4ESD_lEESH_SB_Lm5ESD_lEElllll
	.p2align	8
	.type	_ZN2at6native12_GLOBAL__N_127reflection_pad3d_out_kernelIdEEvN5torch10headeronly6detail27GenericPackedTensorAccessorINS5_14TensorAccessorIN3c108ArrayRefIlEEKT_Lm4ENS4_16DefaultPtrTraitsElEENS_6detail16IndexBoundsCheckILm5ElEESC_Lm5ESD_lEENS6_INS7_ISA_SB_Lm4ESD_lEESH_SB_Lm5ESD_lEElllll,@function
_ZN2at6native12_GLOBAL__N_127reflection_pad3d_out_kernelIdEEvN5torch10headeronly6detail27GenericPackedTensorAccessorINS5_14TensorAccessorIN3c108ArrayRefIlEEKT_Lm4ENS4_16DefaultPtrTraitsElEENS_6detail16IndexBoundsCheckILm5ElEESC_Lm5ESD_lEENS6_INS7_ISA_SB_Lm4ESD_lEESH_SB_Lm5ESD_lEElllll: ; @_ZN2at6native12_GLOBAL__N_127reflection_pad3d_out_kernelIdEEvN5torch10headeronly6detail27GenericPackedTensorAccessorINS5_14TensorAccessorIN3c108ArrayRefIlEEKT_Lm4ENS4_16DefaultPtrTraitsElEENS_6detail16IndexBoundsCheckILm5ElEESC_Lm5ESD_lEENS6_INS7_ISA_SB_Lm4ESD_lEESH_SB_Lm5ESD_lEElllll
; %bb.0:
	s_load_dword s0, s[4:5], 0xe4
	s_load_dwordx4 s[12:15], s[4:5], 0x70
	s_load_dwordx2 s[10:11], s[4:5], 0x80
	v_mov_b32_e32 v2, 0
	v_mov_b32_e32 v1, v2
	s_waitcnt lgkmcnt(0)
	s_and_b32 s0, s0, 0xffff
	v_mov_b32_e32 v3, s6
	v_mad_u64_u32 v[0:1], s[0:1], s0, v3, v[0:1]
	s_mul_i32 s0, s10, s15
	s_mul_hi_u32 s1, s10, s14
	s_add_i32 s9, s1, s0
	s_mul_i32 s0, s11, s14
	s_mul_i32 s6, s10, s14
	s_add_i32 s9, s9, s0
	s_mul_i32 s0, s6, s13
	s_mul_hi_u32 s1, s6, s12
	s_add_i32 s0, s1, s0
	s_mul_i32 s1, s9, s12
	s_add_i32 s1, s0, s1
	s_mul_i32 s0, s6, s12
	v_cmp_gt_i64_e32 vcc, s[0:1], v[0:1]
	s_and_saveexec_b64 s[0:1], vcc
	s_cbranch_execz .LBB62_14
; %bb.1:
	v_or_b32_e32 v3, s11, v1
	v_cmp_ne_u64_e32 vcc, 0, v[2:3]
                                        ; implicit-def: $vgpr4_vgpr5
	s_and_saveexec_b64 s[0:1], vcc
	s_xor_b64 s[2:3], exec, s[0:1]
	s_cbranch_execz .LBB62_3
; %bb.2:
	s_ashr_i32 s12, s11, 31
	s_add_u32 s0, s10, s12
	s_mov_b32 s13, s12
	s_addc_u32 s1, s11, s12
	s_xor_b64 s[16:17], s[0:1], s[12:13]
	v_cvt_f32_u32_e32 v2, s16
	v_cvt_f32_u32_e32 v3, s17
	s_sub_u32 s0, 0, s16
	s_subb_u32 s1, 0, s17
	v_madmk_f32 v2, v3, 0x4f800000, v2
	v_rcp_f32_e32 v2, v2
	v_mul_f32_e32 v2, 0x5f7ffffc, v2
	v_mul_f32_e32 v3, 0x2f800000, v2
	v_trunc_f32_e32 v3, v3
	v_madmk_f32 v2, v3, 0xcf800000, v2
	v_cvt_u32_f32_e32 v3, v3
	v_cvt_u32_f32_e32 v2, v2
	v_mul_lo_u32 v4, s0, v3
	v_mul_hi_u32 v6, s0, v2
	v_mul_lo_u32 v5, s1, v2
	v_add_u32_e32 v4, v6, v4
	v_mul_lo_u32 v7, s0, v2
	v_add_u32_e32 v4, v4, v5
	v_mul_lo_u32 v6, v2, v4
	v_mul_hi_u32 v8, v2, v7
	v_mul_hi_u32 v5, v2, v4
	v_add_co_u32_e32 v6, vcc, v8, v6
	v_addc_co_u32_e32 v5, vcc, 0, v5, vcc
	v_mul_hi_u32 v9, v3, v7
	v_mul_lo_u32 v7, v3, v7
	v_add_co_u32_e32 v6, vcc, v6, v7
	v_mul_hi_u32 v8, v3, v4
	v_addc_co_u32_e32 v5, vcc, v5, v9, vcc
	v_addc_co_u32_e32 v6, vcc, 0, v8, vcc
	v_mul_lo_u32 v4, v3, v4
	v_add_co_u32_e32 v4, vcc, v5, v4
	v_addc_co_u32_e32 v5, vcc, 0, v6, vcc
	v_add_co_u32_e32 v2, vcc, v2, v4
	v_addc_co_u32_e32 v3, vcc, v3, v5, vcc
	v_mul_lo_u32 v4, s0, v3
	v_mul_hi_u32 v5, s0, v2
	v_add_u32_e32 v4, v5, v4
	v_mul_lo_u32 v5, s1, v2
	v_add_u32_e32 v4, v4, v5
	v_mul_lo_u32 v6, s0, v2
	v_mul_hi_u32 v7, v3, v6
	v_mul_lo_u32 v8, v3, v6
	v_mul_lo_u32 v10, v2, v4
	v_mul_hi_u32 v6, v2, v6
	v_mul_hi_u32 v9, v2, v4
	v_add_co_u32_e32 v6, vcc, v6, v10
	v_addc_co_u32_e32 v9, vcc, 0, v9, vcc
	v_add_co_u32_e32 v6, vcc, v6, v8
	v_mul_hi_u32 v5, v3, v4
	v_addc_co_u32_e32 v6, vcc, v9, v7, vcc
	v_addc_co_u32_e32 v5, vcc, 0, v5, vcc
	v_mul_lo_u32 v4, v3, v4
	v_add_co_u32_e32 v4, vcc, v6, v4
	v_addc_co_u32_e32 v5, vcc, 0, v5, vcc
	v_add_co_u32_e32 v4, vcc, v2, v4
	v_addc_co_u32_e32 v5, vcc, v3, v5, vcc
	v_ashrrev_i32_e32 v6, 31, v1
	v_add_co_u32_e32 v2, vcc, v0, v6
	v_addc_co_u32_e32 v3, vcc, v1, v6, vcc
	v_xor_b32_e32 v8, v2, v6
	v_xor_b32_e32 v7, v3, v6
	v_mad_u64_u32 v[2:3], s[0:1], v8, v5, 0
	v_mul_hi_u32 v9, v8, v4
	v_add_co_u32_e32 v9, vcc, v9, v2
	v_addc_co_u32_e32 v10, vcc, 0, v3, vcc
	v_mad_u64_u32 v[2:3], s[0:1], v7, v5, 0
	v_mad_u64_u32 v[4:5], s[0:1], v7, v4, 0
	v_add_co_u32_e32 v4, vcc, v9, v4
	v_addc_co_u32_e32 v4, vcc, v10, v5, vcc
	v_addc_co_u32_e32 v3, vcc, 0, v3, vcc
	v_add_co_u32_e32 v4, vcc, v4, v2
	v_addc_co_u32_e32 v5, vcc, 0, v3, vcc
	v_mul_lo_u32 v9, s17, v4
	v_mul_lo_u32 v10, s16, v5
	v_mad_u64_u32 v[2:3], s[0:1], s16, v4, 0
	v_add3_u32 v3, v3, v10, v9
	v_sub_u32_e32 v9, v7, v3
	v_mov_b32_e32 v10, s17
	v_sub_co_u32_e32 v2, vcc, v8, v2
	v_subb_co_u32_e64 v8, s[0:1], v9, v10, vcc
	v_subrev_co_u32_e64 v9, s[0:1], s16, v2
	v_subbrev_co_u32_e64 v8, s[0:1], 0, v8, s[0:1]
	v_cmp_le_u32_e64 s[0:1], s17, v8
	v_cndmask_b32_e64 v10, 0, -1, s[0:1]
	v_cmp_le_u32_e64 s[0:1], s16, v9
	v_cndmask_b32_e64 v9, 0, -1, s[0:1]
	v_cmp_eq_u32_e64 s[0:1], s17, v8
	v_cndmask_b32_e64 v8, v10, v9, s[0:1]
	v_add_co_u32_e64 v9, s[0:1], 2, v4
	v_subb_co_u32_e32 v3, vcc, v7, v3, vcc
	v_addc_co_u32_e64 v10, s[0:1], 0, v5, s[0:1]
	v_cmp_le_u32_e32 vcc, s17, v3
	v_add_co_u32_e64 v11, s[0:1], 1, v4
	v_cndmask_b32_e64 v7, 0, -1, vcc
	v_cmp_le_u32_e32 vcc, s16, v2
	v_addc_co_u32_e64 v12, s[0:1], 0, v5, s[0:1]
	v_cndmask_b32_e64 v2, 0, -1, vcc
	v_cmp_eq_u32_e32 vcc, s17, v3
	v_cmp_ne_u32_e64 s[0:1], 0, v8
	v_cndmask_b32_e32 v2, v7, v2, vcc
	v_cndmask_b32_e64 v8, v12, v10, s[0:1]
	v_cmp_ne_u32_e32 vcc, 0, v2
	v_cndmask_b32_e64 v3, v11, v9, s[0:1]
	v_cndmask_b32_e32 v2, v5, v8, vcc
	v_cndmask_b32_e32 v3, v4, v3, vcc
	v_xor_b32_e32 v5, s12, v6
	v_xor_b32_e32 v3, v3, v5
	;; [unrolled: 1-line block ×3, first 2 shown]
	v_sub_co_u32_e32 v4, vcc, v3, v5
	v_subb_co_u32_e32 v5, vcc, v2, v5, vcc
.LBB62_3:
	s_andn2_saveexec_b64 s[0:1], s[2:3]
	s_cbranch_execz .LBB62_5
; %bb.4:
	v_cvt_f32_u32_e32 v2, s10
	s_sub_i32 s2, 0, s10
	v_rcp_iflag_f32_e32 v2, v2
	v_mul_f32_e32 v2, 0x4f7ffffe, v2
	v_cvt_u32_f32_e32 v2, v2
	v_mul_lo_u32 v3, s2, v2
	v_mul_hi_u32 v3, v2, v3
	v_add_u32_e32 v2, v2, v3
	v_mul_hi_u32 v2, v0, v2
	v_mul_lo_u32 v3, v2, s10
	v_sub_u32_e32 v3, v0, v3
	v_add_u32_e32 v4, 1, v2
	v_subrev_u32_e32 v5, s10, v3
	v_cmp_le_u32_e32 vcc, s10, v3
	v_cndmask_b32_e32 v3, v3, v5, vcc
	v_cndmask_b32_e32 v2, v2, v4, vcc
	v_add_u32_e32 v4, 1, v2
	v_cmp_le_u32_e32 vcc, s10, v3
	v_cndmask_b32_e32 v4, v2, v4, vcc
	v_mov_b32_e32 v5, 0
.LBB62_5:
	s_or_b64 exec, exec, s[0:1]
	v_or_b32_e32 v3, s15, v5
	v_mov_b32_e32 v2, 0
	v_cmp_ne_u64_e32 vcc, 0, v[2:3]
                                        ; implicit-def: $vgpr2_vgpr3
	s_and_saveexec_b64 s[0:1], vcc
	s_xor_b64 s[12:13], exec, s[0:1]
	s_cbranch_execz .LBB62_7
; %bb.6:
	s_ashr_i32 s0, s15, 31
	s_add_u32 s2, s14, s0
	s_mov_b32 s1, s0
	s_addc_u32 s3, s15, s0
	s_xor_b64 s[16:17], s[2:3], s[0:1]
	v_cvt_f32_u32_e32 v2, s16
	v_cvt_f32_u32_e32 v3, s17
	s_sub_u32 s0, 0, s16
	s_subb_u32 s1, 0, s17
	v_madmk_f32 v2, v3, 0x4f800000, v2
	v_rcp_f32_e32 v2, v2
	v_mul_f32_e32 v2, 0x5f7ffffc, v2
	v_mul_f32_e32 v3, 0x2f800000, v2
	v_trunc_f32_e32 v3, v3
	v_madmk_f32 v2, v3, 0xcf800000, v2
	v_cvt_u32_f32_e32 v3, v3
	v_cvt_u32_f32_e32 v2, v2
	v_mul_lo_u32 v6, s0, v3
	v_mul_hi_u32 v8, s0, v2
	v_mul_lo_u32 v7, s1, v2
	v_add_u32_e32 v6, v8, v6
	v_mul_lo_u32 v9, s0, v2
	v_add_u32_e32 v6, v6, v7
	v_mul_lo_u32 v8, v2, v6
	v_mul_hi_u32 v10, v2, v9
	v_mul_hi_u32 v7, v2, v6
	v_add_co_u32_e32 v8, vcc, v10, v8
	v_addc_co_u32_e32 v7, vcc, 0, v7, vcc
	v_mul_hi_u32 v11, v3, v9
	v_mul_lo_u32 v9, v3, v9
	v_add_co_u32_e32 v8, vcc, v8, v9
	v_mul_hi_u32 v10, v3, v6
	v_addc_co_u32_e32 v7, vcc, v7, v11, vcc
	v_addc_co_u32_e32 v8, vcc, 0, v10, vcc
	v_mul_lo_u32 v6, v3, v6
	v_add_co_u32_e32 v6, vcc, v7, v6
	v_addc_co_u32_e32 v7, vcc, 0, v8, vcc
	v_add_co_u32_e32 v2, vcc, v2, v6
	v_addc_co_u32_e32 v3, vcc, v3, v7, vcc
	v_mul_lo_u32 v6, s0, v3
	v_mul_hi_u32 v7, s0, v2
	v_add_u32_e32 v6, v7, v6
	v_mul_lo_u32 v7, s1, v2
	v_add_u32_e32 v6, v6, v7
	v_mul_lo_u32 v8, s0, v2
	v_mul_hi_u32 v9, v3, v8
	v_mul_lo_u32 v10, v3, v8
	v_mul_lo_u32 v12, v2, v6
	v_mul_hi_u32 v8, v2, v8
	v_mul_hi_u32 v11, v2, v6
	v_add_co_u32_e32 v8, vcc, v8, v12
	v_addc_co_u32_e32 v11, vcc, 0, v11, vcc
	v_add_co_u32_e32 v8, vcc, v8, v10
	v_mul_hi_u32 v7, v3, v6
	v_addc_co_u32_e32 v8, vcc, v11, v9, vcc
	v_addc_co_u32_e32 v7, vcc, 0, v7, vcc
	v_mul_lo_u32 v6, v3, v6
	v_add_co_u32_e32 v6, vcc, v8, v6
	v_addc_co_u32_e32 v7, vcc, 0, v7, vcc
	v_add_co_u32_e32 v6, vcc, v2, v6
	v_addc_co_u32_e32 v7, vcc, v3, v7, vcc
	v_ashrrev_i32_e32 v8, 31, v5
	v_add_co_u32_e32 v2, vcc, v4, v8
	v_addc_co_u32_e32 v3, vcc, v5, v8, vcc
	v_xor_b32_e32 v10, v2, v8
	v_xor_b32_e32 v9, v3, v8
	v_mad_u64_u32 v[2:3], s[0:1], v10, v7, 0
	v_mul_hi_u32 v11, v10, v6
	v_add_co_u32_e32 v11, vcc, v11, v2
	v_addc_co_u32_e32 v12, vcc, 0, v3, vcc
	v_mad_u64_u32 v[2:3], s[0:1], v9, v7, 0
	v_mad_u64_u32 v[6:7], s[0:1], v9, v6, 0
	v_add_co_u32_e32 v6, vcc, v11, v6
	v_addc_co_u32_e32 v6, vcc, v12, v7, vcc
	v_addc_co_u32_e32 v3, vcc, 0, v3, vcc
	v_add_co_u32_e32 v2, vcc, v6, v2
	v_addc_co_u32_e32 v3, vcc, 0, v3, vcc
	v_mul_lo_u32 v6, s17, v2
	v_mul_lo_u32 v7, s16, v3
	v_mad_u64_u32 v[2:3], s[0:1], s16, v2, 0
	v_add3_u32 v3, v3, v7, v6
	v_sub_u32_e32 v6, v9, v3
	v_mov_b32_e32 v7, s17
	v_sub_co_u32_e32 v2, vcc, v10, v2
	v_subb_co_u32_e64 v6, s[0:1], v6, v7, vcc
	v_subrev_co_u32_e64 v10, s[0:1], s16, v2
	v_subbrev_co_u32_e64 v11, s[2:3], 0, v6, s[0:1]
	v_cmp_le_u32_e64 s[2:3], s17, v11
	v_cndmask_b32_e64 v12, 0, -1, s[2:3]
	v_cmp_le_u32_e64 s[2:3], s16, v10
	v_subb_co_u32_e64 v6, s[0:1], v6, v7, s[0:1]
	v_cndmask_b32_e64 v13, 0, -1, s[2:3]
	v_cmp_eq_u32_e64 s[2:3], s17, v11
	v_subrev_co_u32_e64 v7, s[0:1], s16, v10
	v_subb_co_u32_e32 v3, vcc, v9, v3, vcc
	v_cndmask_b32_e64 v12, v12, v13, s[2:3]
	v_subbrev_co_u32_e64 v6, s[0:1], 0, v6, s[0:1]
	v_cmp_le_u32_e32 vcc, s17, v3
	v_cmp_ne_u32_e64 s[0:1], 0, v12
	v_cndmask_b32_e64 v9, 0, -1, vcc
	v_cmp_le_u32_e32 vcc, s16, v2
	v_cndmask_b32_e64 v6, v11, v6, s[0:1]
	v_cndmask_b32_e64 v11, 0, -1, vcc
	v_cmp_eq_u32_e32 vcc, s17, v3
	v_cndmask_b32_e32 v9, v9, v11, vcc
	v_cmp_ne_u32_e32 vcc, 0, v9
	v_cndmask_b32_e32 v3, v3, v6, vcc
	v_cndmask_b32_e64 v6, v10, v7, s[0:1]
	v_cndmask_b32_e32 v2, v2, v6, vcc
	v_xor_b32_e32 v2, v2, v8
	v_xor_b32_e32 v3, v3, v8
	v_sub_co_u32_e32 v2, vcc, v2, v8
	v_subb_co_u32_e32 v3, vcc, v3, v8, vcc
.LBB62_7:
	s_or_saveexec_b64 s[0:1], s[12:13]
	s_load_dwordx2 s[2:3], s[4:5], 0xa8
	s_load_dwordx8 s[36:43], s[4:5], 0x88
	s_xor_b64 exec, exec, s[0:1]
	s_cbranch_execz .LBB62_9
; %bb.8:
	v_cvt_f32_u32_e32 v2, s14
	s_sub_i32 s12, 0, s14
	v_rcp_iflag_f32_e32 v2, v2
	v_mul_f32_e32 v2, 0x4f7ffffe, v2
	v_cvt_u32_f32_e32 v2, v2
	v_mul_lo_u32 v3, s12, v2
	v_mul_hi_u32 v3, v2, v3
	v_add_u32_e32 v2, v2, v3
	v_mul_hi_u32 v2, v4, v2
	v_mul_lo_u32 v2, v2, s14
	v_sub_u32_e32 v2, v4, v2
	v_subrev_u32_e32 v3, s14, v2
	v_cmp_le_u32_e32 vcc, s14, v2
	v_cndmask_b32_e32 v2, v2, v3, vcc
	v_subrev_u32_e32 v3, s14, v2
	v_cmp_le_u32_e32 vcc, s14, v2
	v_cndmask_b32_e32 v2, v2, v3, vcc
	v_mov_b32_e32 v3, 0
.LBB62_9:
	s_or_b64 exec, exec, s[0:1]
	s_load_dwordx2 s[28:29], s[4:5], 0x58
	s_load_dwordx2 s[30:31], s[4:5], 0x0
	v_or_b32_e32 v7, s9, v1
	v_mov_b32_e32 v6, 0
	v_cmp_ne_u64_e32 vcc, 0, v[6:7]
                                        ; implicit-def: $vgpr6_vgpr7
	s_and_saveexec_b64 s[0:1], vcc
	s_xor_b64 s[12:13], exec, s[0:1]
	s_cbranch_execz .LBB62_11
; %bb.10:
	s_ashr_i32 s14, s9, 31
	s_add_u32 s0, s6, s14
	s_mov_b32 s15, s14
	s_addc_u32 s1, s9, s14
	s_xor_b64 s[16:17], s[0:1], s[14:15]
	v_cvt_f32_u32_e32 v6, s16
	v_cvt_f32_u32_e32 v7, s17
	s_sub_u32 s0, 0, s16
	s_subb_u32 s1, 0, s17
	v_madmk_f32 v6, v7, 0x4f800000, v6
	v_rcp_f32_e32 v6, v6
	v_mul_f32_e32 v6, 0x5f7ffffc, v6
	v_mul_f32_e32 v7, 0x2f800000, v6
	v_trunc_f32_e32 v7, v7
	v_madmk_f32 v6, v7, 0xcf800000, v6
	v_cvt_u32_f32_e32 v7, v7
	v_cvt_u32_f32_e32 v6, v6
	v_mul_lo_u32 v8, s0, v7
	v_mul_hi_u32 v10, s0, v6
	v_mul_lo_u32 v9, s1, v6
	v_add_u32_e32 v8, v10, v8
	v_mul_lo_u32 v11, s0, v6
	v_add_u32_e32 v8, v8, v9
	v_mul_lo_u32 v10, v6, v8
	v_mul_hi_u32 v12, v6, v11
	v_mul_hi_u32 v9, v6, v8
	v_add_co_u32_e32 v10, vcc, v12, v10
	v_addc_co_u32_e32 v9, vcc, 0, v9, vcc
	v_mul_hi_u32 v13, v7, v11
	v_mul_lo_u32 v11, v7, v11
	v_add_co_u32_e32 v10, vcc, v10, v11
	v_mul_hi_u32 v12, v7, v8
	v_addc_co_u32_e32 v9, vcc, v9, v13, vcc
	v_addc_co_u32_e32 v10, vcc, 0, v12, vcc
	v_mul_lo_u32 v8, v7, v8
	v_add_co_u32_e32 v8, vcc, v9, v8
	v_addc_co_u32_e32 v9, vcc, 0, v10, vcc
	v_add_co_u32_e32 v6, vcc, v6, v8
	v_addc_co_u32_e32 v7, vcc, v7, v9, vcc
	v_mul_lo_u32 v8, s0, v7
	v_mul_hi_u32 v9, s0, v6
	v_add_u32_e32 v8, v9, v8
	v_mul_lo_u32 v9, s1, v6
	v_add_u32_e32 v8, v8, v9
	v_mul_lo_u32 v10, s0, v6
	v_mul_hi_u32 v11, v7, v10
	v_mul_lo_u32 v12, v7, v10
	v_mul_lo_u32 v14, v6, v8
	v_mul_hi_u32 v10, v6, v10
	v_mul_hi_u32 v13, v6, v8
	v_add_co_u32_e32 v10, vcc, v10, v14
	v_addc_co_u32_e32 v13, vcc, 0, v13, vcc
	v_add_co_u32_e32 v10, vcc, v10, v12
	v_mul_hi_u32 v9, v7, v8
	v_addc_co_u32_e32 v10, vcc, v13, v11, vcc
	v_addc_co_u32_e32 v9, vcc, 0, v9, vcc
	v_mul_lo_u32 v8, v7, v8
	v_add_co_u32_e32 v8, vcc, v10, v8
	v_addc_co_u32_e32 v9, vcc, 0, v9, vcc
	v_add_co_u32_e32 v8, vcc, v6, v8
	v_addc_co_u32_e32 v9, vcc, v7, v9, vcc
	v_ashrrev_i32_e32 v10, 31, v1
	v_add_co_u32_e32 v6, vcc, v0, v10
	v_addc_co_u32_e32 v7, vcc, v1, v10, vcc
	v_xor_b32_e32 v12, v6, v10
	v_xor_b32_e32 v11, v7, v10
	v_mad_u64_u32 v[6:7], s[0:1], v12, v9, 0
	v_mul_hi_u32 v13, v12, v8
	v_add_co_u32_e32 v13, vcc, v13, v6
	v_addc_co_u32_e32 v14, vcc, 0, v7, vcc
	v_mad_u64_u32 v[6:7], s[0:1], v11, v9, 0
	v_mad_u64_u32 v[8:9], s[0:1], v11, v8, 0
	v_add_co_u32_e32 v8, vcc, v13, v8
	v_addc_co_u32_e32 v8, vcc, v14, v9, vcc
	v_addc_co_u32_e32 v7, vcc, 0, v7, vcc
	v_add_co_u32_e32 v8, vcc, v8, v6
	v_addc_co_u32_e32 v9, vcc, 0, v7, vcc
	v_mul_lo_u32 v13, s17, v8
	v_mul_lo_u32 v14, s16, v9
	v_mad_u64_u32 v[6:7], s[0:1], s16, v8, 0
	v_add3_u32 v7, v7, v14, v13
	v_sub_u32_e32 v13, v11, v7
	v_mov_b32_e32 v14, s17
	v_sub_co_u32_e32 v6, vcc, v12, v6
	v_subb_co_u32_e64 v12, s[0:1], v13, v14, vcc
	v_subrev_co_u32_e64 v13, s[0:1], s16, v6
	v_subbrev_co_u32_e64 v12, s[0:1], 0, v12, s[0:1]
	v_cmp_le_u32_e64 s[0:1], s17, v12
	v_cndmask_b32_e64 v14, 0, -1, s[0:1]
	v_cmp_le_u32_e64 s[0:1], s16, v13
	v_cndmask_b32_e64 v13, 0, -1, s[0:1]
	v_cmp_eq_u32_e64 s[0:1], s17, v12
	v_cndmask_b32_e64 v12, v14, v13, s[0:1]
	v_add_co_u32_e64 v13, s[0:1], 2, v8
	v_subb_co_u32_e32 v7, vcc, v11, v7, vcc
	v_addc_co_u32_e64 v14, s[0:1], 0, v9, s[0:1]
	v_cmp_le_u32_e32 vcc, s17, v7
	v_add_co_u32_e64 v15, s[0:1], 1, v8
	v_cndmask_b32_e64 v11, 0, -1, vcc
	v_cmp_le_u32_e32 vcc, s16, v6
	v_addc_co_u32_e64 v16, s[0:1], 0, v9, s[0:1]
	v_cndmask_b32_e64 v6, 0, -1, vcc
	v_cmp_eq_u32_e32 vcc, s17, v7
	v_cmp_ne_u32_e64 s[0:1], 0, v12
	v_cndmask_b32_e32 v6, v11, v6, vcc
	v_cndmask_b32_e64 v12, v16, v14, s[0:1]
	v_cmp_ne_u32_e32 vcc, 0, v6
	v_cndmask_b32_e64 v7, v15, v13, s[0:1]
	v_cndmask_b32_e32 v6, v9, v12, vcc
	v_cndmask_b32_e32 v7, v8, v7, vcc
	v_xor_b32_e32 v8, s14, v10
	v_xor_b32_e32 v9, v6, v8
	;; [unrolled: 1-line block ×3, first 2 shown]
	v_sub_co_u32_e32 v6, vcc, v6, v8
	v_subb_co_u32_e32 v7, vcc, v9, v8, vcc
.LBB62_11:
	s_or_saveexec_b64 s[0:1], s[12:13]
	s_load_dwordx16 s[12:27], s[4:5], 0x18
	s_xor_b64 exec, exec, s[0:1]
	s_cbranch_execz .LBB62_13
; %bb.12:
	v_cvt_f32_u32_e32 v6, s6
	s_sub_i32 s9, 0, s6
	v_rcp_iflag_f32_e32 v6, v6
	v_mul_f32_e32 v6, 0x4f7ffffe, v6
	v_cvt_u32_f32_e32 v6, v6
	v_mul_lo_u32 v7, s9, v6
	v_mul_hi_u32 v7, v6, v7
	v_add_u32_e32 v6, v6, v7
	v_mul_hi_u32 v6, v0, v6
	v_mul_lo_u32 v7, v6, s6
	v_sub_u32_e32 v7, v0, v7
	v_add_u32_e32 v8, 1, v6
	v_subrev_u32_e32 v9, s6, v7
	v_cmp_le_u32_e32 vcc, s6, v7
	v_cndmask_b32_e32 v7, v7, v9, vcc
	v_cndmask_b32_e32 v6, v6, v8, vcc
	v_add_u32_e32 v8, 1, v6
	v_cmp_le_u32_e32 vcc, s6, v7
	v_cndmask_b32_e32 v6, v6, v8, vcc
	v_mov_b32_e32 v7, 0
.LBB62_13:
	s_or_b64 exec, exec, s[0:1]
	s_load_dwordx8 s[44:51], s[4:5], 0xb0
	v_mul_lo_u32 v8, v5, s10
	v_mul_lo_u32 v9, v4, s11
	v_mad_u64_u32 v[4:5], s[0:1], v4, s10, 0
	s_load_dwordx2 s[0:1], s[4:5], 0xd0
	s_waitcnt lgkmcnt(0)
	s_sub_u32 s4, 0, s44
	s_subb_u32 s5, 0, s45
	s_sub_u32 s10, 0, s46
	s_subb_u32 s11, 0, s47
	;; [unrolled: 2-line block ×3, first 2 shown]
	v_cmp_gt_i64_e64 s[52:53], s[4:5], 0
	s_and_b64 s[52:53], s[52:53], exec
	s_cselect_b32 s6, s5, 0
	s_cselect_b32 s9, s4, 0
	v_cmp_gt_i64_e64 s[4:5], s[44:45], 0
	s_and_b64 s[4:5], s[4:5], exec
	v_cmp_gt_i64_e64 s[4:5], s[10:11], 0
	s_cselect_b32 s53, s45, 0
	s_cselect_b32 s52, s44, 0
	s_and_b64 s[4:5], s[4:5], exec
	v_add3_u32 v5, v5, v9, v8
	v_sub_co_u32_e32 v0, vcc, v0, v4
	v_cmp_gt_i64_e64 s[4:5], s[46:47], 0
	v_subb_co_u32_e32 v1, vcc, v1, v5, vcc
	s_cselect_b32 s33, s11, 0
	s_cselect_b32 s54, s10, 0
	s_and_b64 s[4:5], s[4:5], exec
	v_cmp_gt_i64_e64 s[4:5], s[34:35], 0
	v_mov_b32_e32 v5, s45
	v_subrev_co_u32_e32 v4, vcc, s44, v0
	s_cselect_b32 s11, s47, 0
	s_cselect_b32 s10, s46, 0
	s_and_b64 s[4:5], s[4:5], exec
	v_subb_co_u32_e32 v5, vcc, v1, v5, vcc
	v_cmp_gt_i64_e64 s[4:5], s[48:49], 0
	v_ashrrev_i32_e32 v8, 31, v5
	s_cselect_b32 s55, s35, 0
	s_cselect_b32 s56, s34, 0
	s_and_b64 s[4:5], s[4:5], exec
	v_xor_b32_e32 v4, v4, v8
	s_cselect_b32 s5, s49, 0
	s_cselect_b32 s4, s48, 0
	v_xor_b32_e32 v5, v5, v8
	v_sub_co_u32_e32 v9, vcc, v4, v8
	s_add_u32 s34, s16, s44
	v_subb_co_u32_e32 v8, vcc, v5, v8, vcc
	s_addc_u32 s35, s17, s45
	v_mov_b32_e32 v5, s35
	v_subrev_co_u32_e32 v4, vcc, s34, v0
	v_subb_co_u32_e32 v5, vcc, v1, v5, vcc
	v_add_co_u32_e32 v4, vcc, 1, v4
	v_addc_co_u32_e32 v5, vcc, 0, v5, vcc
	s_lshl_b64 s[34:35], s[44:45], 1
	s_not_b64 s[44:45], s[52:53]
	v_ashrrev_i32_e32 v10, 31, v5
	s_add_u32 s34, s34, s44
	v_xor_b32_e32 v4, v4, v10
	s_addc_u32 s35, s35, s45
	v_xor_b32_e32 v5, v5, v10
	v_sub_co_u32_e32 v4, vcc, v4, v10
	s_add_u32 s9, s34, s9
	v_subb_co_u32_e32 v5, vcc, v5, v10, vcc
	s_addc_u32 s6, s35, s6
	s_add_u32 s9, s9, s16
	v_add_co_u32_e32 v4, vcc, v0, v4
	s_addc_u32 s6, s6, s17
	v_addc_co_u32_e32 v5, vcc, v1, v5, vcc
	v_mov_b32_e32 v10, s6
	v_sub_co_u32_e32 v4, vcc, s9, v4
	v_subb_co_u32_e32 v5, vcc, v10, v5, vcc
	v_add_co_u32_e32 v9, vcc, v4, v9
	v_addc_co_u32_e32 v8, vcc, v5, v8, vcc
	v_mov_b32_e32 v4, s47
	v_subrev_co_u32_e32 v5, vcc, s46, v2
	v_subb_co_u32_e32 v4, vcc, v3, v4, vcc
	v_ashrrev_i32_e32 v10, 31, v4
	v_xor_b32_e32 v5, v5, v10
	v_xor_b32_e32 v4, v4, v10
	v_sub_co_u32_e32 v5, vcc, v5, v10
	s_add_u32 s6, s14, s46
	v_subb_co_u32_e32 v4, vcc, v4, v10, vcc
	s_addc_u32 s9, s15, s47
	v_mov_b32_e32 v10, s9
	v_subrev_co_u32_e32 v11, vcc, s6, v2
	v_subb_co_u32_e32 v10, vcc, v3, v10, vcc
	v_add_co_u32_e32 v11, vcc, 1, v11
	v_addc_co_u32_e32 v10, vcc, 0, v10, vcc
	s_lshl_b64 s[16:17], s[46:47], 1
	s_not_b64 s[10:11], s[10:11]
	v_ashrrev_i32_e32 v12, 31, v10
	s_add_u32 s6, s16, s10
	v_xor_b32_e32 v11, v11, v12
	s_addc_u32 s9, s17, s11
	v_xor_b32_e32 v10, v10, v12
	v_sub_co_u32_e32 v11, vcc, v11, v12
	s_add_u32 s6, s6, s54
	v_subb_co_u32_e32 v10, vcc, v10, v12, vcc
	s_addc_u32 s9, s9, s33
	s_add_u32 s6, s6, s14
	v_add_co_u32_e32 v11, vcc, v2, v11
	s_addc_u32 s9, s9, s15
	v_addc_co_u32_e32 v10, vcc, v3, v10, vcc
	v_mov_b32_e32 v12, s9
	v_sub_co_u32_e32 v11, vcc, s6, v11
	v_subb_co_u32_e32 v10, vcc, v12, v10, vcc
	v_add_co_u32_e32 v11, vcc, v11, v5
	v_addc_co_u32_e32 v10, vcc, v10, v4, vcc
	v_mov_b32_e32 v4, s49
	v_subrev_co_u32_e32 v5, vcc, s48, v6
	v_subb_co_u32_e32 v4, vcc, v7, v4, vcc
	v_ashrrev_i32_e32 v12, 31, v4
	v_xor_b32_e32 v5, v5, v12
	v_xor_b32_e32 v4, v4, v12
	v_sub_co_u32_e32 v5, vcc, v5, v12
	s_add_u32 s6, s12, s48
	v_subb_co_u32_e32 v4, vcc, v4, v12, vcc
	s_addc_u32 s9, s13, s49
	v_mov_b32_e32 v12, s9
	v_subrev_co_u32_e32 v13, vcc, s6, v6
	v_subb_co_u32_e32 v12, vcc, v7, v12, vcc
	v_add_co_u32_e32 v13, vcc, 1, v13
	v_addc_co_u32_e32 v12, vcc, 0, v12, vcc
	s_lshl_b64 s[10:11], s[48:49], 1
	s_not_b64 s[4:5], s[4:5]
	v_ashrrev_i32_e32 v14, 31, v12
	s_add_u32 s4, s10, s4
	v_xor_b32_e32 v13, v13, v14
	s_addc_u32 s5, s11, s5
	v_xor_b32_e32 v12, v12, v14
	v_sub_co_u32_e32 v13, vcc, v13, v14
	s_add_u32 s4, s4, s56
	v_subb_co_u32_e32 v12, vcc, v12, v14, vcc
	s_addc_u32 s5, s5, s55
	s_add_u32 s4, s4, s12
	v_add_co_u32_e32 v13, vcc, v6, v13
	s_addc_u32 s5, s5, s13
	v_addc_co_u32_e32 v12, vcc, v7, v12, vcc
	v_sub_co_u32_e32 v13, vcc, s4, v13
	s_add_u32 s4, s7, s50
	v_mov_b32_e32 v14, s5
	s_addc_u32 s5, 0, s51
	s_add_u32 s6, s8, s0
	s_addc_u32 s7, 0, s1
	s_mul_i32 s0, s18, s7
	s_mul_hi_u32 s1, s18, s6
	s_add_i32 s0, s1, s0
	s_mul_i32 s1, s19, s6
	s_add_i32 s1, s0, s1
	s_mul_i32 s0, s18, s6
	s_lshl_b64 s[0:1], s[0:1], 3
	s_add_u32 s8, s30, s0
	s_addc_u32 s9, s31, s1
	s_mul_i32 s0, s20, s5
	s_mul_hi_u32 s1, s20, s4
	s_add_i32 s0, s1, s0
	s_mul_i32 s1, s21, s4
	v_subb_co_u32_e32 v12, vcc, v14, v12, vcc
	s_add_i32 s1, s0, s1
	s_mul_i32 s0, s20, s4
	v_add_co_u32_e32 v5, vcc, v13, v5
	s_lshl_b64 s[0:1], s[0:1], 3
	v_addc_co_u32_e32 v4, vcc, v12, v4, vcc
	s_add_u32 s8, s8, s0
	s_addc_u32 s9, s9, s1
	v_mul_lo_u32 v12, v4, s22
	v_mul_lo_u32 v13, v5, s23
	v_mad_u64_u32 v[4:5], s[0:1], v5, s22, 0
	v_add3_u32 v5, v5, v13, v12
	v_lshlrev_b64 v[4:5], 3, v[4:5]
	v_mov_b32_e32 v12, s9
	v_add_co_u32_e32 v13, vcc, s8, v4
	v_addc_co_u32_e32 v12, vcc, v12, v5, vcc
	v_mul_lo_u32 v10, v10, s24
	v_mul_lo_u32 v14, v11, s25
	v_mad_u64_u32 v[4:5], s[0:1], v11, s24, 0
	v_add3_u32 v5, v5, v14, v10
	v_lshlrev_b64 v[4:5], 3, v[4:5]
	v_add_co_u32_e32 v10, vcc, v13, v4
	v_addc_co_u32_e32 v11, vcc, v12, v5, vcc
	v_mul_lo_u32 v8, v8, s26
	v_mul_lo_u32 v12, v9, s27
	v_mad_u64_u32 v[4:5], s[0:1], v9, s26, 0
	v_add3_u32 v5, v5, v12, v8
	v_lshlrev_b64 v[4:5], 3, v[4:5]
	v_add_co_u32_e32 v4, vcc, v10, v4
	v_addc_co_u32_e32 v5, vcc, v11, v5, vcc
	global_load_dwordx2 v[4:5], v[4:5], off
	s_mul_i32 s0, s36, s7
	s_mul_hi_u32 s1, s36, s6
	s_add_i32 s0, s1, s0
	s_mul_i32 s1, s37, s6
	s_add_i32 s1, s0, s1
	s_mul_i32 s0, s36, s6
	s_lshl_b64 s[0:1], s[0:1], 3
	s_add_u32 s6, s28, s0
	s_addc_u32 s7, s29, s1
	s_mul_i32 s0, s38, s5
	s_mul_hi_u32 s1, s38, s4
	s_add_i32 s0, s1, s0
	s_mul_i32 s1, s39, s4
	s_add_i32 s1, s0, s1
	s_mul_i32 s0, s38, s4
	s_lshl_b64 s[0:1], s[0:1], 3
	s_add_u32 s4, s6, s0
	s_addc_u32 s5, s7, s1
	v_mul_lo_u32 v8, v7, s40
	v_mul_lo_u32 v9, v6, s41
	v_mad_u64_u32 v[6:7], s[0:1], v6, s40, 0
	v_add3_u32 v7, v7, v9, v8
	v_lshlrev_b64 v[6:7], 3, v[6:7]
	v_mov_b32_e32 v8, s5
	v_add_co_u32_e32 v6, vcc, s4, v6
	v_addc_co_u32_e32 v7, vcc, v8, v7, vcc
	v_mul_lo_u32 v8, v3, s42
	v_mul_lo_u32 v9, v2, s43
	v_mad_u64_u32 v[2:3], s[0:1], v2, s42, 0
	v_add3_u32 v3, v3, v9, v8
	v_lshlrev_b64 v[2:3], 3, v[2:3]
	v_add_co_u32_e32 v2, vcc, v6, v2
	v_addc_co_u32_e32 v3, vcc, v7, v3, vcc
	v_mul_lo_u32 v6, v1, s2
	v_mul_lo_u32 v7, v0, s3
	v_mad_u64_u32 v[0:1], s[0:1], v0, s2, 0
	v_add3_u32 v1, v1, v7, v6
	v_lshlrev_b64 v[0:1], 3, v[0:1]
	v_add_co_u32_e32 v0, vcc, v2, v0
	v_addc_co_u32_e32 v1, vcc, v3, v1, vcc
	s_waitcnt vmcnt(0)
	global_store_dwordx2 v[0:1], v[4:5], off
.LBB62_14:
	s_endpgm
	.section	.rodata,"a",@progbits
	.p2align	6, 0x0
	.amdhsa_kernel _ZN2at6native12_GLOBAL__N_127reflection_pad3d_out_kernelIdEEvN5torch10headeronly6detail27GenericPackedTensorAccessorINS5_14TensorAccessorIN3c108ArrayRefIlEEKT_Lm4ENS4_16DefaultPtrTraitsElEENS_6detail16IndexBoundsCheckILm5ElEESC_Lm5ESD_lEENS6_INS7_ISA_SB_Lm4ESD_lEESH_SB_Lm5ESD_lEElllll
		.amdhsa_group_segment_fixed_size 0
		.amdhsa_private_segment_fixed_size 0
		.amdhsa_kernarg_size 472
		.amdhsa_user_sgpr_count 6
		.amdhsa_user_sgpr_private_segment_buffer 1
		.amdhsa_user_sgpr_dispatch_ptr 0
		.amdhsa_user_sgpr_queue_ptr 0
		.amdhsa_user_sgpr_kernarg_segment_ptr 1
		.amdhsa_user_sgpr_dispatch_id 0
		.amdhsa_user_sgpr_flat_scratch_init 0
		.amdhsa_user_sgpr_kernarg_preload_length 0
		.amdhsa_user_sgpr_kernarg_preload_offset 0
		.amdhsa_user_sgpr_private_segment_size 0
		.amdhsa_uses_dynamic_stack 0
		.amdhsa_system_sgpr_private_segment_wavefront_offset 0
		.amdhsa_system_sgpr_workgroup_id_x 1
		.amdhsa_system_sgpr_workgroup_id_y 1
		.amdhsa_system_sgpr_workgroup_id_z 1
		.amdhsa_system_sgpr_workgroup_info 0
		.amdhsa_system_vgpr_workitem_id 0
		.amdhsa_next_free_vgpr 17
		.amdhsa_next_free_sgpr 57
		.amdhsa_accum_offset 20
		.amdhsa_reserve_vcc 1
		.amdhsa_reserve_flat_scratch 0
		.amdhsa_float_round_mode_32 0
		.amdhsa_float_round_mode_16_64 0
		.amdhsa_float_denorm_mode_32 3
		.amdhsa_float_denorm_mode_16_64 3
		.amdhsa_dx10_clamp 1
		.amdhsa_ieee_mode 1
		.amdhsa_fp16_overflow 0
		.amdhsa_tg_split 0
		.amdhsa_exception_fp_ieee_invalid_op 0
		.amdhsa_exception_fp_denorm_src 0
		.amdhsa_exception_fp_ieee_div_zero 0
		.amdhsa_exception_fp_ieee_overflow 0
		.amdhsa_exception_fp_ieee_underflow 0
		.amdhsa_exception_fp_ieee_inexact 0
		.amdhsa_exception_int_div_zero 0
	.end_amdhsa_kernel
	.section	.text._ZN2at6native12_GLOBAL__N_127reflection_pad3d_out_kernelIdEEvN5torch10headeronly6detail27GenericPackedTensorAccessorINS5_14TensorAccessorIN3c108ArrayRefIlEEKT_Lm4ENS4_16DefaultPtrTraitsElEENS_6detail16IndexBoundsCheckILm5ElEESC_Lm5ESD_lEENS6_INS7_ISA_SB_Lm4ESD_lEESH_SB_Lm5ESD_lEElllll,"axG",@progbits,_ZN2at6native12_GLOBAL__N_127reflection_pad3d_out_kernelIdEEvN5torch10headeronly6detail27GenericPackedTensorAccessorINS5_14TensorAccessorIN3c108ArrayRefIlEEKT_Lm4ENS4_16DefaultPtrTraitsElEENS_6detail16IndexBoundsCheckILm5ElEESC_Lm5ESD_lEENS6_INS7_ISA_SB_Lm4ESD_lEESH_SB_Lm5ESD_lEElllll,comdat
.Lfunc_end62:
	.size	_ZN2at6native12_GLOBAL__N_127reflection_pad3d_out_kernelIdEEvN5torch10headeronly6detail27GenericPackedTensorAccessorINS5_14TensorAccessorIN3c108ArrayRefIlEEKT_Lm4ENS4_16DefaultPtrTraitsElEENS_6detail16IndexBoundsCheckILm5ElEESC_Lm5ESD_lEENS6_INS7_ISA_SB_Lm4ESD_lEESH_SB_Lm5ESD_lEElllll, .Lfunc_end62-_ZN2at6native12_GLOBAL__N_127reflection_pad3d_out_kernelIdEEvN5torch10headeronly6detail27GenericPackedTensorAccessorINS5_14TensorAccessorIN3c108ArrayRefIlEEKT_Lm4ENS4_16DefaultPtrTraitsElEENS_6detail16IndexBoundsCheckILm5ElEESC_Lm5ESD_lEENS6_INS7_ISA_SB_Lm4ESD_lEESH_SB_Lm5ESD_lEElllll
                                        ; -- End function
	.section	.AMDGPU.csdata,"",@progbits
; Kernel info:
; codeLenInByte = 3680
; NumSgprs: 61
; NumVgprs: 17
; NumAgprs: 0
; TotalNumVgprs: 17
; ScratchSize: 0
; MemoryBound: 0
; FloatMode: 240
; IeeeMode: 1
; LDSByteSize: 0 bytes/workgroup (compile time only)
; SGPRBlocks: 7
; VGPRBlocks: 2
; NumSGPRsForWavesPerEU: 61
; NumVGPRsForWavesPerEU: 17
; AccumOffset: 20
; Occupancy: 8
; WaveLimiterHint : 0
; COMPUTE_PGM_RSRC2:SCRATCH_EN: 0
; COMPUTE_PGM_RSRC2:USER_SGPR: 6
; COMPUTE_PGM_RSRC2:TRAP_HANDLER: 0
; COMPUTE_PGM_RSRC2:TGID_X_EN: 1
; COMPUTE_PGM_RSRC2:TGID_Y_EN: 1
; COMPUTE_PGM_RSRC2:TGID_Z_EN: 1
; COMPUTE_PGM_RSRC2:TIDIG_COMP_CNT: 0
; COMPUTE_PGM_RSRC3_GFX90A:ACCUM_OFFSET: 4
; COMPUTE_PGM_RSRC3_GFX90A:TG_SPLIT: 0
	.section	.text._ZN2at6native12_GLOBAL__N_127reflection_pad3d_out_kernelIfEEvN5torch10headeronly6detail27GenericPackedTensorAccessorINS5_14TensorAccessorIN3c108ArrayRefIlEEKT_Lm4ENS4_16DefaultPtrTraitsElEENS_6detail16IndexBoundsCheckILm5ElEESC_Lm5ESD_lEENS6_INS7_ISA_SB_Lm4ESD_lEESH_SB_Lm5ESD_lEElllll,"axG",@progbits,_ZN2at6native12_GLOBAL__N_127reflection_pad3d_out_kernelIfEEvN5torch10headeronly6detail27GenericPackedTensorAccessorINS5_14TensorAccessorIN3c108ArrayRefIlEEKT_Lm4ENS4_16DefaultPtrTraitsElEENS_6detail16IndexBoundsCheckILm5ElEESC_Lm5ESD_lEENS6_INS7_ISA_SB_Lm4ESD_lEESH_SB_Lm5ESD_lEElllll,comdat
	.globl	_ZN2at6native12_GLOBAL__N_127reflection_pad3d_out_kernelIfEEvN5torch10headeronly6detail27GenericPackedTensorAccessorINS5_14TensorAccessorIN3c108ArrayRefIlEEKT_Lm4ENS4_16DefaultPtrTraitsElEENS_6detail16IndexBoundsCheckILm5ElEESC_Lm5ESD_lEENS6_INS7_ISA_SB_Lm4ESD_lEESH_SB_Lm5ESD_lEElllll ; -- Begin function _ZN2at6native12_GLOBAL__N_127reflection_pad3d_out_kernelIfEEvN5torch10headeronly6detail27GenericPackedTensorAccessorINS5_14TensorAccessorIN3c108ArrayRefIlEEKT_Lm4ENS4_16DefaultPtrTraitsElEENS_6detail16IndexBoundsCheckILm5ElEESC_Lm5ESD_lEENS6_INS7_ISA_SB_Lm4ESD_lEESH_SB_Lm5ESD_lEElllll
	.p2align	8
	.type	_ZN2at6native12_GLOBAL__N_127reflection_pad3d_out_kernelIfEEvN5torch10headeronly6detail27GenericPackedTensorAccessorINS5_14TensorAccessorIN3c108ArrayRefIlEEKT_Lm4ENS4_16DefaultPtrTraitsElEENS_6detail16IndexBoundsCheckILm5ElEESC_Lm5ESD_lEENS6_INS7_ISA_SB_Lm4ESD_lEESH_SB_Lm5ESD_lEElllll,@function
_ZN2at6native12_GLOBAL__N_127reflection_pad3d_out_kernelIfEEvN5torch10headeronly6detail27GenericPackedTensorAccessorINS5_14TensorAccessorIN3c108ArrayRefIlEEKT_Lm4ENS4_16DefaultPtrTraitsElEENS_6detail16IndexBoundsCheckILm5ElEESC_Lm5ESD_lEENS6_INS7_ISA_SB_Lm4ESD_lEESH_SB_Lm5ESD_lEElllll: ; @_ZN2at6native12_GLOBAL__N_127reflection_pad3d_out_kernelIfEEvN5torch10headeronly6detail27GenericPackedTensorAccessorINS5_14TensorAccessorIN3c108ArrayRefIlEEKT_Lm4ENS4_16DefaultPtrTraitsElEENS_6detail16IndexBoundsCheckILm5ElEESC_Lm5ESD_lEENS6_INS7_ISA_SB_Lm4ESD_lEESH_SB_Lm5ESD_lEElllll
; %bb.0:
	s_load_dword s0, s[4:5], 0xe4
	s_load_dwordx4 s[12:15], s[4:5], 0x70
	s_load_dwordx2 s[10:11], s[4:5], 0x80
	v_mov_b32_e32 v2, 0
	v_mov_b32_e32 v1, v2
	s_waitcnt lgkmcnt(0)
	s_and_b32 s0, s0, 0xffff
	v_mov_b32_e32 v3, s6
	v_mad_u64_u32 v[0:1], s[0:1], s0, v3, v[0:1]
	s_mul_i32 s0, s10, s15
	s_mul_hi_u32 s1, s10, s14
	s_add_i32 s9, s1, s0
	s_mul_i32 s0, s11, s14
	s_mul_i32 s6, s10, s14
	s_add_i32 s9, s9, s0
	s_mul_i32 s0, s6, s13
	s_mul_hi_u32 s1, s6, s12
	s_add_i32 s0, s1, s0
	s_mul_i32 s1, s9, s12
	s_add_i32 s1, s0, s1
	s_mul_i32 s0, s6, s12
	v_cmp_gt_i64_e32 vcc, s[0:1], v[0:1]
	s_and_saveexec_b64 s[0:1], vcc
	s_cbranch_execz .LBB63_14
; %bb.1:
	v_or_b32_e32 v3, s11, v1
	v_cmp_ne_u64_e32 vcc, 0, v[2:3]
                                        ; implicit-def: $vgpr4_vgpr5
	s_and_saveexec_b64 s[0:1], vcc
	s_xor_b64 s[2:3], exec, s[0:1]
	s_cbranch_execz .LBB63_3
; %bb.2:
	s_ashr_i32 s12, s11, 31
	s_add_u32 s0, s10, s12
	s_mov_b32 s13, s12
	s_addc_u32 s1, s11, s12
	s_xor_b64 s[16:17], s[0:1], s[12:13]
	v_cvt_f32_u32_e32 v2, s16
	v_cvt_f32_u32_e32 v3, s17
	s_sub_u32 s0, 0, s16
	s_subb_u32 s1, 0, s17
	v_madmk_f32 v2, v3, 0x4f800000, v2
	v_rcp_f32_e32 v2, v2
	v_mul_f32_e32 v2, 0x5f7ffffc, v2
	v_mul_f32_e32 v3, 0x2f800000, v2
	v_trunc_f32_e32 v3, v3
	v_madmk_f32 v2, v3, 0xcf800000, v2
	v_cvt_u32_f32_e32 v3, v3
	v_cvt_u32_f32_e32 v2, v2
	v_mul_lo_u32 v4, s0, v3
	v_mul_hi_u32 v6, s0, v2
	v_mul_lo_u32 v5, s1, v2
	v_add_u32_e32 v4, v6, v4
	v_mul_lo_u32 v7, s0, v2
	v_add_u32_e32 v4, v4, v5
	v_mul_lo_u32 v6, v2, v4
	v_mul_hi_u32 v8, v2, v7
	v_mul_hi_u32 v5, v2, v4
	v_add_co_u32_e32 v6, vcc, v8, v6
	v_addc_co_u32_e32 v5, vcc, 0, v5, vcc
	v_mul_hi_u32 v9, v3, v7
	v_mul_lo_u32 v7, v3, v7
	v_add_co_u32_e32 v6, vcc, v6, v7
	v_mul_hi_u32 v8, v3, v4
	v_addc_co_u32_e32 v5, vcc, v5, v9, vcc
	v_addc_co_u32_e32 v6, vcc, 0, v8, vcc
	v_mul_lo_u32 v4, v3, v4
	v_add_co_u32_e32 v4, vcc, v5, v4
	v_addc_co_u32_e32 v5, vcc, 0, v6, vcc
	v_add_co_u32_e32 v2, vcc, v2, v4
	v_addc_co_u32_e32 v3, vcc, v3, v5, vcc
	v_mul_lo_u32 v4, s0, v3
	v_mul_hi_u32 v5, s0, v2
	v_add_u32_e32 v4, v5, v4
	v_mul_lo_u32 v5, s1, v2
	v_add_u32_e32 v4, v4, v5
	v_mul_lo_u32 v6, s0, v2
	v_mul_hi_u32 v7, v3, v6
	v_mul_lo_u32 v8, v3, v6
	v_mul_lo_u32 v10, v2, v4
	v_mul_hi_u32 v6, v2, v6
	v_mul_hi_u32 v9, v2, v4
	v_add_co_u32_e32 v6, vcc, v6, v10
	v_addc_co_u32_e32 v9, vcc, 0, v9, vcc
	v_add_co_u32_e32 v6, vcc, v6, v8
	v_mul_hi_u32 v5, v3, v4
	v_addc_co_u32_e32 v6, vcc, v9, v7, vcc
	v_addc_co_u32_e32 v5, vcc, 0, v5, vcc
	v_mul_lo_u32 v4, v3, v4
	v_add_co_u32_e32 v4, vcc, v6, v4
	v_addc_co_u32_e32 v5, vcc, 0, v5, vcc
	v_add_co_u32_e32 v4, vcc, v2, v4
	v_addc_co_u32_e32 v5, vcc, v3, v5, vcc
	v_ashrrev_i32_e32 v6, 31, v1
	v_add_co_u32_e32 v2, vcc, v0, v6
	v_addc_co_u32_e32 v3, vcc, v1, v6, vcc
	v_xor_b32_e32 v8, v2, v6
	v_xor_b32_e32 v7, v3, v6
	v_mad_u64_u32 v[2:3], s[0:1], v8, v5, 0
	v_mul_hi_u32 v9, v8, v4
	v_add_co_u32_e32 v9, vcc, v9, v2
	v_addc_co_u32_e32 v10, vcc, 0, v3, vcc
	v_mad_u64_u32 v[2:3], s[0:1], v7, v5, 0
	v_mad_u64_u32 v[4:5], s[0:1], v7, v4, 0
	v_add_co_u32_e32 v4, vcc, v9, v4
	v_addc_co_u32_e32 v4, vcc, v10, v5, vcc
	v_addc_co_u32_e32 v3, vcc, 0, v3, vcc
	v_add_co_u32_e32 v4, vcc, v4, v2
	v_addc_co_u32_e32 v5, vcc, 0, v3, vcc
	v_mul_lo_u32 v9, s17, v4
	v_mul_lo_u32 v10, s16, v5
	v_mad_u64_u32 v[2:3], s[0:1], s16, v4, 0
	v_add3_u32 v3, v3, v10, v9
	v_sub_u32_e32 v9, v7, v3
	v_mov_b32_e32 v10, s17
	v_sub_co_u32_e32 v2, vcc, v8, v2
	v_subb_co_u32_e64 v8, s[0:1], v9, v10, vcc
	v_subrev_co_u32_e64 v9, s[0:1], s16, v2
	v_subbrev_co_u32_e64 v8, s[0:1], 0, v8, s[0:1]
	v_cmp_le_u32_e64 s[0:1], s17, v8
	v_cndmask_b32_e64 v10, 0, -1, s[0:1]
	v_cmp_le_u32_e64 s[0:1], s16, v9
	v_cndmask_b32_e64 v9, 0, -1, s[0:1]
	v_cmp_eq_u32_e64 s[0:1], s17, v8
	v_cndmask_b32_e64 v8, v10, v9, s[0:1]
	v_add_co_u32_e64 v9, s[0:1], 2, v4
	v_subb_co_u32_e32 v3, vcc, v7, v3, vcc
	v_addc_co_u32_e64 v10, s[0:1], 0, v5, s[0:1]
	v_cmp_le_u32_e32 vcc, s17, v3
	v_add_co_u32_e64 v11, s[0:1], 1, v4
	v_cndmask_b32_e64 v7, 0, -1, vcc
	v_cmp_le_u32_e32 vcc, s16, v2
	v_addc_co_u32_e64 v12, s[0:1], 0, v5, s[0:1]
	v_cndmask_b32_e64 v2, 0, -1, vcc
	v_cmp_eq_u32_e32 vcc, s17, v3
	v_cmp_ne_u32_e64 s[0:1], 0, v8
	v_cndmask_b32_e32 v2, v7, v2, vcc
	v_cndmask_b32_e64 v8, v12, v10, s[0:1]
	v_cmp_ne_u32_e32 vcc, 0, v2
	v_cndmask_b32_e64 v3, v11, v9, s[0:1]
	v_cndmask_b32_e32 v2, v5, v8, vcc
	v_cndmask_b32_e32 v3, v4, v3, vcc
	v_xor_b32_e32 v5, s12, v6
	v_xor_b32_e32 v3, v3, v5
	;; [unrolled: 1-line block ×3, first 2 shown]
	v_sub_co_u32_e32 v4, vcc, v3, v5
	v_subb_co_u32_e32 v5, vcc, v2, v5, vcc
.LBB63_3:
	s_andn2_saveexec_b64 s[0:1], s[2:3]
	s_cbranch_execz .LBB63_5
; %bb.4:
	v_cvt_f32_u32_e32 v2, s10
	s_sub_i32 s2, 0, s10
	v_rcp_iflag_f32_e32 v2, v2
	v_mul_f32_e32 v2, 0x4f7ffffe, v2
	v_cvt_u32_f32_e32 v2, v2
	v_mul_lo_u32 v3, s2, v2
	v_mul_hi_u32 v3, v2, v3
	v_add_u32_e32 v2, v2, v3
	v_mul_hi_u32 v2, v0, v2
	v_mul_lo_u32 v3, v2, s10
	v_sub_u32_e32 v3, v0, v3
	v_add_u32_e32 v4, 1, v2
	v_subrev_u32_e32 v5, s10, v3
	v_cmp_le_u32_e32 vcc, s10, v3
	v_cndmask_b32_e32 v3, v3, v5, vcc
	v_cndmask_b32_e32 v2, v2, v4, vcc
	v_add_u32_e32 v4, 1, v2
	v_cmp_le_u32_e32 vcc, s10, v3
	v_cndmask_b32_e32 v4, v2, v4, vcc
	v_mov_b32_e32 v5, 0
.LBB63_5:
	s_or_b64 exec, exec, s[0:1]
	v_or_b32_e32 v3, s15, v5
	v_mov_b32_e32 v2, 0
	v_cmp_ne_u64_e32 vcc, 0, v[2:3]
                                        ; implicit-def: $vgpr2_vgpr3
	s_and_saveexec_b64 s[0:1], vcc
	s_xor_b64 s[12:13], exec, s[0:1]
	s_cbranch_execz .LBB63_7
; %bb.6:
	s_ashr_i32 s0, s15, 31
	s_add_u32 s2, s14, s0
	s_mov_b32 s1, s0
	s_addc_u32 s3, s15, s0
	s_xor_b64 s[16:17], s[2:3], s[0:1]
	v_cvt_f32_u32_e32 v2, s16
	v_cvt_f32_u32_e32 v3, s17
	s_sub_u32 s0, 0, s16
	s_subb_u32 s1, 0, s17
	v_madmk_f32 v2, v3, 0x4f800000, v2
	v_rcp_f32_e32 v2, v2
	v_mul_f32_e32 v2, 0x5f7ffffc, v2
	v_mul_f32_e32 v3, 0x2f800000, v2
	v_trunc_f32_e32 v3, v3
	v_madmk_f32 v2, v3, 0xcf800000, v2
	v_cvt_u32_f32_e32 v3, v3
	v_cvt_u32_f32_e32 v2, v2
	v_mul_lo_u32 v6, s0, v3
	v_mul_hi_u32 v8, s0, v2
	v_mul_lo_u32 v7, s1, v2
	v_add_u32_e32 v6, v8, v6
	v_mul_lo_u32 v9, s0, v2
	v_add_u32_e32 v6, v6, v7
	v_mul_lo_u32 v8, v2, v6
	v_mul_hi_u32 v10, v2, v9
	v_mul_hi_u32 v7, v2, v6
	v_add_co_u32_e32 v8, vcc, v10, v8
	v_addc_co_u32_e32 v7, vcc, 0, v7, vcc
	v_mul_hi_u32 v11, v3, v9
	v_mul_lo_u32 v9, v3, v9
	v_add_co_u32_e32 v8, vcc, v8, v9
	v_mul_hi_u32 v10, v3, v6
	v_addc_co_u32_e32 v7, vcc, v7, v11, vcc
	v_addc_co_u32_e32 v8, vcc, 0, v10, vcc
	v_mul_lo_u32 v6, v3, v6
	v_add_co_u32_e32 v6, vcc, v7, v6
	v_addc_co_u32_e32 v7, vcc, 0, v8, vcc
	v_add_co_u32_e32 v2, vcc, v2, v6
	v_addc_co_u32_e32 v3, vcc, v3, v7, vcc
	v_mul_lo_u32 v6, s0, v3
	v_mul_hi_u32 v7, s0, v2
	v_add_u32_e32 v6, v7, v6
	v_mul_lo_u32 v7, s1, v2
	v_add_u32_e32 v6, v6, v7
	v_mul_lo_u32 v8, s0, v2
	v_mul_hi_u32 v9, v3, v8
	v_mul_lo_u32 v10, v3, v8
	v_mul_lo_u32 v12, v2, v6
	v_mul_hi_u32 v8, v2, v8
	v_mul_hi_u32 v11, v2, v6
	v_add_co_u32_e32 v8, vcc, v8, v12
	v_addc_co_u32_e32 v11, vcc, 0, v11, vcc
	v_add_co_u32_e32 v8, vcc, v8, v10
	v_mul_hi_u32 v7, v3, v6
	v_addc_co_u32_e32 v8, vcc, v11, v9, vcc
	v_addc_co_u32_e32 v7, vcc, 0, v7, vcc
	v_mul_lo_u32 v6, v3, v6
	v_add_co_u32_e32 v6, vcc, v8, v6
	v_addc_co_u32_e32 v7, vcc, 0, v7, vcc
	v_add_co_u32_e32 v6, vcc, v2, v6
	v_addc_co_u32_e32 v7, vcc, v3, v7, vcc
	v_ashrrev_i32_e32 v8, 31, v5
	v_add_co_u32_e32 v2, vcc, v4, v8
	v_addc_co_u32_e32 v3, vcc, v5, v8, vcc
	v_xor_b32_e32 v10, v2, v8
	v_xor_b32_e32 v9, v3, v8
	v_mad_u64_u32 v[2:3], s[0:1], v10, v7, 0
	v_mul_hi_u32 v11, v10, v6
	v_add_co_u32_e32 v11, vcc, v11, v2
	v_addc_co_u32_e32 v12, vcc, 0, v3, vcc
	v_mad_u64_u32 v[2:3], s[0:1], v9, v7, 0
	v_mad_u64_u32 v[6:7], s[0:1], v9, v6, 0
	v_add_co_u32_e32 v6, vcc, v11, v6
	v_addc_co_u32_e32 v6, vcc, v12, v7, vcc
	v_addc_co_u32_e32 v3, vcc, 0, v3, vcc
	v_add_co_u32_e32 v2, vcc, v6, v2
	v_addc_co_u32_e32 v3, vcc, 0, v3, vcc
	v_mul_lo_u32 v6, s17, v2
	v_mul_lo_u32 v7, s16, v3
	v_mad_u64_u32 v[2:3], s[0:1], s16, v2, 0
	v_add3_u32 v3, v3, v7, v6
	v_sub_u32_e32 v6, v9, v3
	v_mov_b32_e32 v7, s17
	v_sub_co_u32_e32 v2, vcc, v10, v2
	v_subb_co_u32_e64 v6, s[0:1], v6, v7, vcc
	v_subrev_co_u32_e64 v10, s[0:1], s16, v2
	v_subbrev_co_u32_e64 v11, s[2:3], 0, v6, s[0:1]
	v_cmp_le_u32_e64 s[2:3], s17, v11
	v_cndmask_b32_e64 v12, 0, -1, s[2:3]
	v_cmp_le_u32_e64 s[2:3], s16, v10
	v_subb_co_u32_e64 v6, s[0:1], v6, v7, s[0:1]
	v_cndmask_b32_e64 v13, 0, -1, s[2:3]
	v_cmp_eq_u32_e64 s[2:3], s17, v11
	v_subrev_co_u32_e64 v7, s[0:1], s16, v10
	v_subb_co_u32_e32 v3, vcc, v9, v3, vcc
	v_cndmask_b32_e64 v12, v12, v13, s[2:3]
	v_subbrev_co_u32_e64 v6, s[0:1], 0, v6, s[0:1]
	v_cmp_le_u32_e32 vcc, s17, v3
	v_cmp_ne_u32_e64 s[0:1], 0, v12
	v_cndmask_b32_e64 v9, 0, -1, vcc
	v_cmp_le_u32_e32 vcc, s16, v2
	v_cndmask_b32_e64 v6, v11, v6, s[0:1]
	v_cndmask_b32_e64 v11, 0, -1, vcc
	v_cmp_eq_u32_e32 vcc, s17, v3
	v_cndmask_b32_e32 v9, v9, v11, vcc
	v_cmp_ne_u32_e32 vcc, 0, v9
	v_cndmask_b32_e32 v3, v3, v6, vcc
	v_cndmask_b32_e64 v6, v10, v7, s[0:1]
	v_cndmask_b32_e32 v2, v2, v6, vcc
	v_xor_b32_e32 v2, v2, v8
	v_xor_b32_e32 v3, v3, v8
	v_sub_co_u32_e32 v2, vcc, v2, v8
	v_subb_co_u32_e32 v3, vcc, v3, v8, vcc
.LBB63_7:
	s_or_saveexec_b64 s[0:1], s[12:13]
	s_load_dwordx2 s[2:3], s[4:5], 0xa8
	s_load_dwordx8 s[36:43], s[4:5], 0x88
	s_xor_b64 exec, exec, s[0:1]
	s_cbranch_execz .LBB63_9
; %bb.8:
	v_cvt_f32_u32_e32 v2, s14
	s_sub_i32 s12, 0, s14
	v_rcp_iflag_f32_e32 v2, v2
	v_mul_f32_e32 v2, 0x4f7ffffe, v2
	v_cvt_u32_f32_e32 v2, v2
	v_mul_lo_u32 v3, s12, v2
	v_mul_hi_u32 v3, v2, v3
	v_add_u32_e32 v2, v2, v3
	v_mul_hi_u32 v2, v4, v2
	v_mul_lo_u32 v2, v2, s14
	v_sub_u32_e32 v2, v4, v2
	v_subrev_u32_e32 v3, s14, v2
	v_cmp_le_u32_e32 vcc, s14, v2
	v_cndmask_b32_e32 v2, v2, v3, vcc
	v_subrev_u32_e32 v3, s14, v2
	v_cmp_le_u32_e32 vcc, s14, v2
	v_cndmask_b32_e32 v2, v2, v3, vcc
	v_mov_b32_e32 v3, 0
.LBB63_9:
	s_or_b64 exec, exec, s[0:1]
	s_load_dwordx2 s[28:29], s[4:5], 0x58
	s_load_dwordx2 s[30:31], s[4:5], 0x0
	v_or_b32_e32 v7, s9, v1
	v_mov_b32_e32 v6, 0
	v_cmp_ne_u64_e32 vcc, 0, v[6:7]
                                        ; implicit-def: $vgpr6_vgpr7
	s_and_saveexec_b64 s[0:1], vcc
	s_xor_b64 s[12:13], exec, s[0:1]
	s_cbranch_execz .LBB63_11
; %bb.10:
	s_ashr_i32 s14, s9, 31
	s_add_u32 s0, s6, s14
	s_mov_b32 s15, s14
	s_addc_u32 s1, s9, s14
	s_xor_b64 s[16:17], s[0:1], s[14:15]
	v_cvt_f32_u32_e32 v6, s16
	v_cvt_f32_u32_e32 v7, s17
	s_sub_u32 s0, 0, s16
	s_subb_u32 s1, 0, s17
	v_madmk_f32 v6, v7, 0x4f800000, v6
	v_rcp_f32_e32 v6, v6
	v_mul_f32_e32 v6, 0x5f7ffffc, v6
	v_mul_f32_e32 v7, 0x2f800000, v6
	v_trunc_f32_e32 v7, v7
	v_madmk_f32 v6, v7, 0xcf800000, v6
	v_cvt_u32_f32_e32 v7, v7
	v_cvt_u32_f32_e32 v6, v6
	v_mul_lo_u32 v8, s0, v7
	v_mul_hi_u32 v10, s0, v6
	v_mul_lo_u32 v9, s1, v6
	v_add_u32_e32 v8, v10, v8
	v_mul_lo_u32 v11, s0, v6
	v_add_u32_e32 v8, v8, v9
	v_mul_lo_u32 v10, v6, v8
	v_mul_hi_u32 v12, v6, v11
	v_mul_hi_u32 v9, v6, v8
	v_add_co_u32_e32 v10, vcc, v12, v10
	v_addc_co_u32_e32 v9, vcc, 0, v9, vcc
	v_mul_hi_u32 v13, v7, v11
	v_mul_lo_u32 v11, v7, v11
	v_add_co_u32_e32 v10, vcc, v10, v11
	v_mul_hi_u32 v12, v7, v8
	v_addc_co_u32_e32 v9, vcc, v9, v13, vcc
	v_addc_co_u32_e32 v10, vcc, 0, v12, vcc
	v_mul_lo_u32 v8, v7, v8
	v_add_co_u32_e32 v8, vcc, v9, v8
	v_addc_co_u32_e32 v9, vcc, 0, v10, vcc
	v_add_co_u32_e32 v6, vcc, v6, v8
	v_addc_co_u32_e32 v7, vcc, v7, v9, vcc
	v_mul_lo_u32 v8, s0, v7
	v_mul_hi_u32 v9, s0, v6
	v_add_u32_e32 v8, v9, v8
	v_mul_lo_u32 v9, s1, v6
	v_add_u32_e32 v8, v8, v9
	v_mul_lo_u32 v10, s0, v6
	v_mul_hi_u32 v11, v7, v10
	v_mul_lo_u32 v12, v7, v10
	v_mul_lo_u32 v14, v6, v8
	v_mul_hi_u32 v10, v6, v10
	v_mul_hi_u32 v13, v6, v8
	v_add_co_u32_e32 v10, vcc, v10, v14
	v_addc_co_u32_e32 v13, vcc, 0, v13, vcc
	v_add_co_u32_e32 v10, vcc, v10, v12
	v_mul_hi_u32 v9, v7, v8
	v_addc_co_u32_e32 v10, vcc, v13, v11, vcc
	v_addc_co_u32_e32 v9, vcc, 0, v9, vcc
	v_mul_lo_u32 v8, v7, v8
	v_add_co_u32_e32 v8, vcc, v10, v8
	v_addc_co_u32_e32 v9, vcc, 0, v9, vcc
	v_add_co_u32_e32 v8, vcc, v6, v8
	v_addc_co_u32_e32 v9, vcc, v7, v9, vcc
	v_ashrrev_i32_e32 v10, 31, v1
	v_add_co_u32_e32 v6, vcc, v0, v10
	v_addc_co_u32_e32 v7, vcc, v1, v10, vcc
	v_xor_b32_e32 v12, v6, v10
	v_xor_b32_e32 v11, v7, v10
	v_mad_u64_u32 v[6:7], s[0:1], v12, v9, 0
	v_mul_hi_u32 v13, v12, v8
	v_add_co_u32_e32 v13, vcc, v13, v6
	v_addc_co_u32_e32 v14, vcc, 0, v7, vcc
	v_mad_u64_u32 v[6:7], s[0:1], v11, v9, 0
	v_mad_u64_u32 v[8:9], s[0:1], v11, v8, 0
	v_add_co_u32_e32 v8, vcc, v13, v8
	v_addc_co_u32_e32 v8, vcc, v14, v9, vcc
	v_addc_co_u32_e32 v7, vcc, 0, v7, vcc
	v_add_co_u32_e32 v8, vcc, v8, v6
	v_addc_co_u32_e32 v9, vcc, 0, v7, vcc
	v_mul_lo_u32 v13, s17, v8
	v_mul_lo_u32 v14, s16, v9
	v_mad_u64_u32 v[6:7], s[0:1], s16, v8, 0
	v_add3_u32 v7, v7, v14, v13
	v_sub_u32_e32 v13, v11, v7
	v_mov_b32_e32 v14, s17
	v_sub_co_u32_e32 v6, vcc, v12, v6
	v_subb_co_u32_e64 v12, s[0:1], v13, v14, vcc
	v_subrev_co_u32_e64 v13, s[0:1], s16, v6
	v_subbrev_co_u32_e64 v12, s[0:1], 0, v12, s[0:1]
	v_cmp_le_u32_e64 s[0:1], s17, v12
	v_cndmask_b32_e64 v14, 0, -1, s[0:1]
	v_cmp_le_u32_e64 s[0:1], s16, v13
	v_cndmask_b32_e64 v13, 0, -1, s[0:1]
	v_cmp_eq_u32_e64 s[0:1], s17, v12
	v_cndmask_b32_e64 v12, v14, v13, s[0:1]
	v_add_co_u32_e64 v13, s[0:1], 2, v8
	v_subb_co_u32_e32 v7, vcc, v11, v7, vcc
	v_addc_co_u32_e64 v14, s[0:1], 0, v9, s[0:1]
	v_cmp_le_u32_e32 vcc, s17, v7
	v_add_co_u32_e64 v15, s[0:1], 1, v8
	v_cndmask_b32_e64 v11, 0, -1, vcc
	v_cmp_le_u32_e32 vcc, s16, v6
	v_addc_co_u32_e64 v16, s[0:1], 0, v9, s[0:1]
	v_cndmask_b32_e64 v6, 0, -1, vcc
	v_cmp_eq_u32_e32 vcc, s17, v7
	v_cmp_ne_u32_e64 s[0:1], 0, v12
	v_cndmask_b32_e32 v6, v11, v6, vcc
	v_cndmask_b32_e64 v12, v16, v14, s[0:1]
	v_cmp_ne_u32_e32 vcc, 0, v6
	v_cndmask_b32_e64 v7, v15, v13, s[0:1]
	v_cndmask_b32_e32 v6, v9, v12, vcc
	v_cndmask_b32_e32 v7, v8, v7, vcc
	v_xor_b32_e32 v8, s14, v10
	v_xor_b32_e32 v9, v6, v8
	;; [unrolled: 1-line block ×3, first 2 shown]
	v_sub_co_u32_e32 v6, vcc, v6, v8
	v_subb_co_u32_e32 v7, vcc, v9, v8, vcc
.LBB63_11:
	s_or_saveexec_b64 s[0:1], s[12:13]
	s_load_dwordx16 s[12:27], s[4:5], 0x18
	s_xor_b64 exec, exec, s[0:1]
	s_cbranch_execz .LBB63_13
; %bb.12:
	v_cvt_f32_u32_e32 v6, s6
	s_sub_i32 s9, 0, s6
	v_rcp_iflag_f32_e32 v6, v6
	v_mul_f32_e32 v6, 0x4f7ffffe, v6
	v_cvt_u32_f32_e32 v6, v6
	v_mul_lo_u32 v7, s9, v6
	v_mul_hi_u32 v7, v6, v7
	v_add_u32_e32 v6, v6, v7
	v_mul_hi_u32 v6, v0, v6
	v_mul_lo_u32 v7, v6, s6
	v_sub_u32_e32 v7, v0, v7
	v_add_u32_e32 v8, 1, v6
	v_subrev_u32_e32 v9, s6, v7
	v_cmp_le_u32_e32 vcc, s6, v7
	v_cndmask_b32_e32 v7, v7, v9, vcc
	v_cndmask_b32_e32 v6, v6, v8, vcc
	v_add_u32_e32 v8, 1, v6
	v_cmp_le_u32_e32 vcc, s6, v7
	v_cndmask_b32_e32 v6, v6, v8, vcc
	v_mov_b32_e32 v7, 0
.LBB63_13:
	s_or_b64 exec, exec, s[0:1]
	s_load_dwordx8 s[44:51], s[4:5], 0xb0
	v_mul_lo_u32 v8, v5, s10
	v_mul_lo_u32 v9, v4, s11
	v_mad_u64_u32 v[4:5], s[0:1], v4, s10, 0
	s_load_dwordx2 s[0:1], s[4:5], 0xd0
	s_waitcnt lgkmcnt(0)
	s_sub_u32 s4, 0, s44
	s_subb_u32 s5, 0, s45
	s_sub_u32 s10, 0, s46
	s_subb_u32 s11, 0, s47
	;; [unrolled: 2-line block ×3, first 2 shown]
	v_cmp_gt_i64_e64 s[52:53], s[4:5], 0
	s_and_b64 s[52:53], s[52:53], exec
	s_cselect_b32 s6, s5, 0
	s_cselect_b32 s9, s4, 0
	v_cmp_gt_i64_e64 s[4:5], s[44:45], 0
	s_and_b64 s[4:5], s[4:5], exec
	v_cmp_gt_i64_e64 s[4:5], s[10:11], 0
	s_cselect_b32 s53, s45, 0
	s_cselect_b32 s52, s44, 0
	s_and_b64 s[4:5], s[4:5], exec
	v_add3_u32 v5, v5, v9, v8
	v_sub_co_u32_e32 v0, vcc, v0, v4
	v_cmp_gt_i64_e64 s[4:5], s[46:47], 0
	v_subb_co_u32_e32 v1, vcc, v1, v5, vcc
	s_cselect_b32 s33, s11, 0
	s_cselect_b32 s54, s10, 0
	s_and_b64 s[4:5], s[4:5], exec
	v_cmp_gt_i64_e64 s[4:5], s[34:35], 0
	v_mov_b32_e32 v5, s45
	v_subrev_co_u32_e32 v4, vcc, s44, v0
	s_cselect_b32 s11, s47, 0
	s_cselect_b32 s10, s46, 0
	s_and_b64 s[4:5], s[4:5], exec
	v_subb_co_u32_e32 v5, vcc, v1, v5, vcc
	v_cmp_gt_i64_e64 s[4:5], s[48:49], 0
	v_ashrrev_i32_e32 v8, 31, v5
	s_cselect_b32 s55, s35, 0
	s_cselect_b32 s56, s34, 0
	s_and_b64 s[4:5], s[4:5], exec
	v_xor_b32_e32 v4, v4, v8
	s_cselect_b32 s5, s49, 0
	s_cselect_b32 s4, s48, 0
	v_xor_b32_e32 v5, v5, v8
	v_sub_co_u32_e32 v9, vcc, v4, v8
	s_add_u32 s34, s16, s44
	v_subb_co_u32_e32 v8, vcc, v5, v8, vcc
	s_addc_u32 s35, s17, s45
	v_mov_b32_e32 v5, s35
	v_subrev_co_u32_e32 v4, vcc, s34, v0
	v_subb_co_u32_e32 v5, vcc, v1, v5, vcc
	v_add_co_u32_e32 v4, vcc, 1, v4
	v_addc_co_u32_e32 v5, vcc, 0, v5, vcc
	s_lshl_b64 s[34:35], s[44:45], 1
	s_not_b64 s[44:45], s[52:53]
	v_ashrrev_i32_e32 v10, 31, v5
	s_add_u32 s34, s34, s44
	v_xor_b32_e32 v4, v4, v10
	s_addc_u32 s35, s35, s45
	v_xor_b32_e32 v5, v5, v10
	v_sub_co_u32_e32 v4, vcc, v4, v10
	s_add_u32 s9, s34, s9
	v_subb_co_u32_e32 v5, vcc, v5, v10, vcc
	s_addc_u32 s6, s35, s6
	s_add_u32 s9, s9, s16
	v_add_co_u32_e32 v4, vcc, v0, v4
	s_addc_u32 s6, s6, s17
	v_addc_co_u32_e32 v5, vcc, v1, v5, vcc
	v_mov_b32_e32 v10, s6
	v_sub_co_u32_e32 v4, vcc, s9, v4
	v_subb_co_u32_e32 v5, vcc, v10, v5, vcc
	v_add_co_u32_e32 v9, vcc, v4, v9
	v_addc_co_u32_e32 v8, vcc, v5, v8, vcc
	v_mov_b32_e32 v4, s47
	v_subrev_co_u32_e32 v5, vcc, s46, v2
	v_subb_co_u32_e32 v4, vcc, v3, v4, vcc
	v_ashrrev_i32_e32 v10, 31, v4
	v_xor_b32_e32 v5, v5, v10
	v_xor_b32_e32 v4, v4, v10
	v_sub_co_u32_e32 v5, vcc, v5, v10
	s_add_u32 s6, s14, s46
	v_subb_co_u32_e32 v4, vcc, v4, v10, vcc
	s_addc_u32 s9, s15, s47
	v_mov_b32_e32 v10, s9
	v_subrev_co_u32_e32 v11, vcc, s6, v2
	v_subb_co_u32_e32 v10, vcc, v3, v10, vcc
	v_add_co_u32_e32 v11, vcc, 1, v11
	v_addc_co_u32_e32 v10, vcc, 0, v10, vcc
	s_lshl_b64 s[16:17], s[46:47], 1
	s_not_b64 s[10:11], s[10:11]
	v_ashrrev_i32_e32 v12, 31, v10
	s_add_u32 s6, s16, s10
	v_xor_b32_e32 v11, v11, v12
	s_addc_u32 s9, s17, s11
	v_xor_b32_e32 v10, v10, v12
	v_sub_co_u32_e32 v11, vcc, v11, v12
	s_add_u32 s6, s6, s54
	v_subb_co_u32_e32 v10, vcc, v10, v12, vcc
	s_addc_u32 s9, s9, s33
	s_add_u32 s6, s6, s14
	v_add_co_u32_e32 v11, vcc, v2, v11
	s_addc_u32 s9, s9, s15
	v_addc_co_u32_e32 v10, vcc, v3, v10, vcc
	v_mov_b32_e32 v12, s9
	v_sub_co_u32_e32 v11, vcc, s6, v11
	v_subb_co_u32_e32 v10, vcc, v12, v10, vcc
	v_add_co_u32_e32 v11, vcc, v11, v5
	v_addc_co_u32_e32 v10, vcc, v10, v4, vcc
	v_mov_b32_e32 v4, s49
	v_subrev_co_u32_e32 v5, vcc, s48, v6
	v_subb_co_u32_e32 v4, vcc, v7, v4, vcc
	v_ashrrev_i32_e32 v12, 31, v4
	v_xor_b32_e32 v5, v5, v12
	v_xor_b32_e32 v4, v4, v12
	v_sub_co_u32_e32 v5, vcc, v5, v12
	s_add_u32 s6, s12, s48
	v_subb_co_u32_e32 v4, vcc, v4, v12, vcc
	s_addc_u32 s9, s13, s49
	v_mov_b32_e32 v12, s9
	v_subrev_co_u32_e32 v13, vcc, s6, v6
	v_subb_co_u32_e32 v12, vcc, v7, v12, vcc
	v_add_co_u32_e32 v13, vcc, 1, v13
	v_addc_co_u32_e32 v12, vcc, 0, v12, vcc
	s_lshl_b64 s[10:11], s[48:49], 1
	s_not_b64 s[4:5], s[4:5]
	v_ashrrev_i32_e32 v14, 31, v12
	s_add_u32 s4, s10, s4
	v_xor_b32_e32 v13, v13, v14
	s_addc_u32 s5, s11, s5
	v_xor_b32_e32 v12, v12, v14
	v_sub_co_u32_e32 v13, vcc, v13, v14
	s_add_u32 s4, s4, s56
	v_subb_co_u32_e32 v12, vcc, v12, v14, vcc
	s_addc_u32 s5, s5, s55
	s_add_u32 s4, s4, s12
	v_add_co_u32_e32 v13, vcc, v6, v13
	s_addc_u32 s5, s5, s13
	v_addc_co_u32_e32 v12, vcc, v7, v12, vcc
	v_sub_co_u32_e32 v13, vcc, s4, v13
	s_add_u32 s4, s7, s50
	v_mov_b32_e32 v14, s5
	s_addc_u32 s5, 0, s51
	s_add_u32 s6, s8, s0
	s_addc_u32 s7, 0, s1
	s_mul_i32 s0, s18, s7
	s_mul_hi_u32 s1, s18, s6
	s_add_i32 s0, s1, s0
	s_mul_i32 s1, s19, s6
	s_add_i32 s1, s0, s1
	s_mul_i32 s0, s18, s6
	s_lshl_b64 s[0:1], s[0:1], 2
	s_add_u32 s8, s30, s0
	s_addc_u32 s9, s31, s1
	s_mul_i32 s0, s20, s5
	s_mul_hi_u32 s1, s20, s4
	s_add_i32 s0, s1, s0
	s_mul_i32 s1, s21, s4
	v_subb_co_u32_e32 v12, vcc, v14, v12, vcc
	s_add_i32 s1, s0, s1
	s_mul_i32 s0, s20, s4
	v_add_co_u32_e32 v5, vcc, v13, v5
	s_lshl_b64 s[0:1], s[0:1], 2
	v_addc_co_u32_e32 v4, vcc, v12, v4, vcc
	s_add_u32 s8, s8, s0
	s_addc_u32 s9, s9, s1
	v_mul_lo_u32 v12, v4, s22
	v_mul_lo_u32 v13, v5, s23
	v_mad_u64_u32 v[4:5], s[0:1], v5, s22, 0
	v_add3_u32 v5, v5, v13, v12
	v_lshlrev_b64 v[4:5], 2, v[4:5]
	v_mov_b32_e32 v12, s9
	v_add_co_u32_e32 v13, vcc, s8, v4
	v_addc_co_u32_e32 v12, vcc, v12, v5, vcc
	v_mul_lo_u32 v10, v10, s24
	v_mul_lo_u32 v14, v11, s25
	v_mad_u64_u32 v[4:5], s[0:1], v11, s24, 0
	v_add3_u32 v5, v5, v14, v10
	v_lshlrev_b64 v[4:5], 2, v[4:5]
	v_add_co_u32_e32 v10, vcc, v13, v4
	v_addc_co_u32_e32 v11, vcc, v12, v5, vcc
	v_mul_lo_u32 v8, v8, s26
	v_mul_lo_u32 v12, v9, s27
	v_mad_u64_u32 v[4:5], s[0:1], v9, s26, 0
	v_add3_u32 v5, v5, v12, v8
	v_lshlrev_b64 v[4:5], 2, v[4:5]
	v_add_co_u32_e32 v4, vcc, v10, v4
	v_addc_co_u32_e32 v5, vcc, v11, v5, vcc
	global_load_dword v8, v[4:5], off
	s_mul_i32 s0, s36, s7
	s_mul_hi_u32 s1, s36, s6
	s_add_i32 s0, s1, s0
	s_mul_i32 s1, s37, s6
	s_add_i32 s1, s0, s1
	s_mul_i32 s0, s36, s6
	s_lshl_b64 s[0:1], s[0:1], 2
	s_add_u32 s6, s28, s0
	s_addc_u32 s7, s29, s1
	s_mul_i32 s0, s38, s5
	s_mul_hi_u32 s1, s38, s4
	s_add_i32 s0, s1, s0
	s_mul_i32 s1, s39, s4
	s_add_i32 s1, s0, s1
	s_mul_i32 s0, s38, s4
	s_lshl_b64 s[0:1], s[0:1], 2
	s_add_u32 s4, s6, s0
	s_addc_u32 s5, s7, s1
	v_mul_lo_u32 v7, v7, s40
	v_mul_lo_u32 v9, v6, s41
	v_mad_u64_u32 v[4:5], s[0:1], v6, s40, 0
	v_add3_u32 v5, v5, v9, v7
	v_lshlrev_b64 v[4:5], 2, v[4:5]
	v_mov_b32_e32 v6, s5
	v_add_co_u32_e32 v4, vcc, s4, v4
	v_addc_co_u32_e32 v5, vcc, v6, v5, vcc
	v_mul_lo_u32 v6, v3, s42
	v_mul_lo_u32 v7, v2, s43
	v_mad_u64_u32 v[2:3], s[0:1], v2, s42, 0
	v_add3_u32 v3, v3, v7, v6
	v_lshlrev_b64 v[2:3], 2, v[2:3]
	v_add_co_u32_e32 v2, vcc, v4, v2
	v_addc_co_u32_e32 v3, vcc, v5, v3, vcc
	v_mul_lo_u32 v4, v1, s2
	v_mul_lo_u32 v5, v0, s3
	v_mad_u64_u32 v[0:1], s[0:1], v0, s2, 0
	v_add3_u32 v1, v1, v5, v4
	v_lshlrev_b64 v[0:1], 2, v[0:1]
	v_add_co_u32_e32 v0, vcc, v2, v0
	v_addc_co_u32_e32 v1, vcc, v3, v1, vcc
	s_waitcnt vmcnt(0)
	global_store_dword v[0:1], v8, off
.LBB63_14:
	s_endpgm
	.section	.rodata,"a",@progbits
	.p2align	6, 0x0
	.amdhsa_kernel _ZN2at6native12_GLOBAL__N_127reflection_pad3d_out_kernelIfEEvN5torch10headeronly6detail27GenericPackedTensorAccessorINS5_14TensorAccessorIN3c108ArrayRefIlEEKT_Lm4ENS4_16DefaultPtrTraitsElEENS_6detail16IndexBoundsCheckILm5ElEESC_Lm5ESD_lEENS6_INS7_ISA_SB_Lm4ESD_lEESH_SB_Lm5ESD_lEElllll
		.amdhsa_group_segment_fixed_size 0
		.amdhsa_private_segment_fixed_size 0
		.amdhsa_kernarg_size 472
		.amdhsa_user_sgpr_count 6
		.amdhsa_user_sgpr_private_segment_buffer 1
		.amdhsa_user_sgpr_dispatch_ptr 0
		.amdhsa_user_sgpr_queue_ptr 0
		.amdhsa_user_sgpr_kernarg_segment_ptr 1
		.amdhsa_user_sgpr_dispatch_id 0
		.amdhsa_user_sgpr_flat_scratch_init 0
		.amdhsa_user_sgpr_kernarg_preload_length 0
		.amdhsa_user_sgpr_kernarg_preload_offset 0
		.amdhsa_user_sgpr_private_segment_size 0
		.amdhsa_uses_dynamic_stack 0
		.amdhsa_system_sgpr_private_segment_wavefront_offset 0
		.amdhsa_system_sgpr_workgroup_id_x 1
		.amdhsa_system_sgpr_workgroup_id_y 1
		.amdhsa_system_sgpr_workgroup_id_z 1
		.amdhsa_system_sgpr_workgroup_info 0
		.amdhsa_system_vgpr_workitem_id 0
		.amdhsa_next_free_vgpr 17
		.amdhsa_next_free_sgpr 57
		.amdhsa_accum_offset 20
		.amdhsa_reserve_vcc 1
		.amdhsa_reserve_flat_scratch 0
		.amdhsa_float_round_mode_32 0
		.amdhsa_float_round_mode_16_64 0
		.amdhsa_float_denorm_mode_32 3
		.amdhsa_float_denorm_mode_16_64 3
		.amdhsa_dx10_clamp 1
		.amdhsa_ieee_mode 1
		.amdhsa_fp16_overflow 0
		.amdhsa_tg_split 0
		.amdhsa_exception_fp_ieee_invalid_op 0
		.amdhsa_exception_fp_denorm_src 0
		.amdhsa_exception_fp_ieee_div_zero 0
		.amdhsa_exception_fp_ieee_overflow 0
		.amdhsa_exception_fp_ieee_underflow 0
		.amdhsa_exception_fp_ieee_inexact 0
		.amdhsa_exception_int_div_zero 0
	.end_amdhsa_kernel
	.section	.text._ZN2at6native12_GLOBAL__N_127reflection_pad3d_out_kernelIfEEvN5torch10headeronly6detail27GenericPackedTensorAccessorINS5_14TensorAccessorIN3c108ArrayRefIlEEKT_Lm4ENS4_16DefaultPtrTraitsElEENS_6detail16IndexBoundsCheckILm5ElEESC_Lm5ESD_lEENS6_INS7_ISA_SB_Lm4ESD_lEESH_SB_Lm5ESD_lEElllll,"axG",@progbits,_ZN2at6native12_GLOBAL__N_127reflection_pad3d_out_kernelIfEEvN5torch10headeronly6detail27GenericPackedTensorAccessorINS5_14TensorAccessorIN3c108ArrayRefIlEEKT_Lm4ENS4_16DefaultPtrTraitsElEENS_6detail16IndexBoundsCheckILm5ElEESC_Lm5ESD_lEENS6_INS7_ISA_SB_Lm4ESD_lEESH_SB_Lm5ESD_lEElllll,comdat
.Lfunc_end63:
	.size	_ZN2at6native12_GLOBAL__N_127reflection_pad3d_out_kernelIfEEvN5torch10headeronly6detail27GenericPackedTensorAccessorINS5_14TensorAccessorIN3c108ArrayRefIlEEKT_Lm4ENS4_16DefaultPtrTraitsElEENS_6detail16IndexBoundsCheckILm5ElEESC_Lm5ESD_lEENS6_INS7_ISA_SB_Lm4ESD_lEESH_SB_Lm5ESD_lEElllll, .Lfunc_end63-_ZN2at6native12_GLOBAL__N_127reflection_pad3d_out_kernelIfEEvN5torch10headeronly6detail27GenericPackedTensorAccessorINS5_14TensorAccessorIN3c108ArrayRefIlEEKT_Lm4ENS4_16DefaultPtrTraitsElEENS_6detail16IndexBoundsCheckILm5ElEESC_Lm5ESD_lEENS6_INS7_ISA_SB_Lm4ESD_lEESH_SB_Lm5ESD_lEElllll
                                        ; -- End function
	.section	.AMDGPU.csdata,"",@progbits
; Kernel info:
; codeLenInByte = 3680
; NumSgprs: 61
; NumVgprs: 17
; NumAgprs: 0
; TotalNumVgprs: 17
; ScratchSize: 0
; MemoryBound: 0
; FloatMode: 240
; IeeeMode: 1
; LDSByteSize: 0 bytes/workgroup (compile time only)
; SGPRBlocks: 7
; VGPRBlocks: 2
; NumSGPRsForWavesPerEU: 61
; NumVGPRsForWavesPerEU: 17
; AccumOffset: 20
; Occupancy: 8
; WaveLimiterHint : 0
; COMPUTE_PGM_RSRC2:SCRATCH_EN: 0
; COMPUTE_PGM_RSRC2:USER_SGPR: 6
; COMPUTE_PGM_RSRC2:TRAP_HANDLER: 0
; COMPUTE_PGM_RSRC2:TGID_X_EN: 1
; COMPUTE_PGM_RSRC2:TGID_Y_EN: 1
; COMPUTE_PGM_RSRC2:TGID_Z_EN: 1
; COMPUTE_PGM_RSRC2:TIDIG_COMP_CNT: 0
; COMPUTE_PGM_RSRC3_GFX90A:ACCUM_OFFSET: 4
; COMPUTE_PGM_RSRC3_GFX90A:TG_SPLIT: 0
	.section	.text._ZN2at6native12_GLOBAL__N_127reflection_pad3d_out_kernelIN3c107complexIdEEEEvN5torch10headeronly6detail27GenericPackedTensorAccessorINS8_14TensorAccessorINS3_8ArrayRefIlEEKT_Lm4ENS7_16DefaultPtrTraitsElEENS_6detail16IndexBoundsCheckILm5ElEESE_Lm5ESF_lEENS9_INSA_ISC_SD_Lm4ESF_lEESJ_SD_Lm5ESF_lEElllll,"axG",@progbits,_ZN2at6native12_GLOBAL__N_127reflection_pad3d_out_kernelIN3c107complexIdEEEEvN5torch10headeronly6detail27GenericPackedTensorAccessorINS8_14TensorAccessorINS3_8ArrayRefIlEEKT_Lm4ENS7_16DefaultPtrTraitsElEENS_6detail16IndexBoundsCheckILm5ElEESE_Lm5ESF_lEENS9_INSA_ISC_SD_Lm4ESF_lEESJ_SD_Lm5ESF_lEElllll,comdat
	.globl	_ZN2at6native12_GLOBAL__N_127reflection_pad3d_out_kernelIN3c107complexIdEEEEvN5torch10headeronly6detail27GenericPackedTensorAccessorINS8_14TensorAccessorINS3_8ArrayRefIlEEKT_Lm4ENS7_16DefaultPtrTraitsElEENS_6detail16IndexBoundsCheckILm5ElEESE_Lm5ESF_lEENS9_INSA_ISC_SD_Lm4ESF_lEESJ_SD_Lm5ESF_lEElllll ; -- Begin function _ZN2at6native12_GLOBAL__N_127reflection_pad3d_out_kernelIN3c107complexIdEEEEvN5torch10headeronly6detail27GenericPackedTensorAccessorINS8_14TensorAccessorINS3_8ArrayRefIlEEKT_Lm4ENS7_16DefaultPtrTraitsElEENS_6detail16IndexBoundsCheckILm5ElEESE_Lm5ESF_lEENS9_INSA_ISC_SD_Lm4ESF_lEESJ_SD_Lm5ESF_lEElllll
	.p2align	8
	.type	_ZN2at6native12_GLOBAL__N_127reflection_pad3d_out_kernelIN3c107complexIdEEEEvN5torch10headeronly6detail27GenericPackedTensorAccessorINS8_14TensorAccessorINS3_8ArrayRefIlEEKT_Lm4ENS7_16DefaultPtrTraitsElEENS_6detail16IndexBoundsCheckILm5ElEESE_Lm5ESF_lEENS9_INSA_ISC_SD_Lm4ESF_lEESJ_SD_Lm5ESF_lEElllll,@function
_ZN2at6native12_GLOBAL__N_127reflection_pad3d_out_kernelIN3c107complexIdEEEEvN5torch10headeronly6detail27GenericPackedTensorAccessorINS8_14TensorAccessorINS3_8ArrayRefIlEEKT_Lm4ENS7_16DefaultPtrTraitsElEENS_6detail16IndexBoundsCheckILm5ElEESE_Lm5ESF_lEENS9_INSA_ISC_SD_Lm4ESF_lEESJ_SD_Lm5ESF_lEElllll: ; @_ZN2at6native12_GLOBAL__N_127reflection_pad3d_out_kernelIN3c107complexIdEEEEvN5torch10headeronly6detail27GenericPackedTensorAccessorINS8_14TensorAccessorINS3_8ArrayRefIlEEKT_Lm4ENS7_16DefaultPtrTraitsElEENS_6detail16IndexBoundsCheckILm5ElEESE_Lm5ESF_lEENS9_INSA_ISC_SD_Lm4ESF_lEESJ_SD_Lm5ESF_lEElllll
; %bb.0:
	s_load_dword s0, s[4:5], 0xe4
	s_load_dwordx4 s[12:15], s[4:5], 0x70
	s_load_dwordx2 s[10:11], s[4:5], 0x80
	v_mov_b32_e32 v2, 0
	v_mov_b32_e32 v1, v2
	s_waitcnt lgkmcnt(0)
	s_and_b32 s0, s0, 0xffff
	v_mov_b32_e32 v3, s6
	v_mad_u64_u32 v[0:1], s[0:1], s0, v3, v[0:1]
	s_mul_i32 s0, s10, s15
	s_mul_hi_u32 s1, s10, s14
	s_add_i32 s9, s1, s0
	s_mul_i32 s0, s11, s14
	s_mul_i32 s6, s10, s14
	s_add_i32 s9, s9, s0
	s_mul_i32 s0, s6, s13
	s_mul_hi_u32 s1, s6, s12
	s_add_i32 s0, s1, s0
	s_mul_i32 s1, s9, s12
	s_add_i32 s1, s0, s1
	s_mul_i32 s0, s6, s12
	v_cmp_gt_i64_e32 vcc, s[0:1], v[0:1]
	s_and_saveexec_b64 s[0:1], vcc
	s_cbranch_execz .LBB64_14
; %bb.1:
	v_or_b32_e32 v3, s11, v1
	v_cmp_ne_u64_e32 vcc, 0, v[2:3]
                                        ; implicit-def: $vgpr4_vgpr5
	s_and_saveexec_b64 s[0:1], vcc
	s_xor_b64 s[2:3], exec, s[0:1]
	s_cbranch_execz .LBB64_3
; %bb.2:
	s_ashr_i32 s12, s11, 31
	s_add_u32 s0, s10, s12
	s_mov_b32 s13, s12
	s_addc_u32 s1, s11, s12
	s_xor_b64 s[16:17], s[0:1], s[12:13]
	v_cvt_f32_u32_e32 v2, s16
	v_cvt_f32_u32_e32 v3, s17
	s_sub_u32 s0, 0, s16
	s_subb_u32 s1, 0, s17
	v_madmk_f32 v2, v3, 0x4f800000, v2
	v_rcp_f32_e32 v2, v2
	v_mul_f32_e32 v2, 0x5f7ffffc, v2
	v_mul_f32_e32 v3, 0x2f800000, v2
	v_trunc_f32_e32 v3, v3
	v_madmk_f32 v2, v3, 0xcf800000, v2
	v_cvt_u32_f32_e32 v3, v3
	v_cvt_u32_f32_e32 v2, v2
	v_mul_lo_u32 v4, s0, v3
	v_mul_hi_u32 v6, s0, v2
	v_mul_lo_u32 v5, s1, v2
	v_add_u32_e32 v4, v6, v4
	v_mul_lo_u32 v7, s0, v2
	v_add_u32_e32 v4, v4, v5
	v_mul_lo_u32 v6, v2, v4
	v_mul_hi_u32 v8, v2, v7
	v_mul_hi_u32 v5, v2, v4
	v_add_co_u32_e32 v6, vcc, v8, v6
	v_addc_co_u32_e32 v5, vcc, 0, v5, vcc
	v_mul_hi_u32 v9, v3, v7
	v_mul_lo_u32 v7, v3, v7
	v_add_co_u32_e32 v6, vcc, v6, v7
	v_mul_hi_u32 v8, v3, v4
	v_addc_co_u32_e32 v5, vcc, v5, v9, vcc
	v_addc_co_u32_e32 v6, vcc, 0, v8, vcc
	v_mul_lo_u32 v4, v3, v4
	v_add_co_u32_e32 v4, vcc, v5, v4
	v_addc_co_u32_e32 v5, vcc, 0, v6, vcc
	v_add_co_u32_e32 v2, vcc, v2, v4
	v_addc_co_u32_e32 v3, vcc, v3, v5, vcc
	v_mul_lo_u32 v4, s0, v3
	v_mul_hi_u32 v5, s0, v2
	v_add_u32_e32 v4, v5, v4
	v_mul_lo_u32 v5, s1, v2
	v_add_u32_e32 v4, v4, v5
	v_mul_lo_u32 v6, s0, v2
	v_mul_hi_u32 v7, v3, v6
	v_mul_lo_u32 v8, v3, v6
	v_mul_lo_u32 v10, v2, v4
	v_mul_hi_u32 v6, v2, v6
	v_mul_hi_u32 v9, v2, v4
	v_add_co_u32_e32 v6, vcc, v6, v10
	v_addc_co_u32_e32 v9, vcc, 0, v9, vcc
	v_add_co_u32_e32 v6, vcc, v6, v8
	v_mul_hi_u32 v5, v3, v4
	v_addc_co_u32_e32 v6, vcc, v9, v7, vcc
	v_addc_co_u32_e32 v5, vcc, 0, v5, vcc
	v_mul_lo_u32 v4, v3, v4
	v_add_co_u32_e32 v4, vcc, v6, v4
	v_addc_co_u32_e32 v5, vcc, 0, v5, vcc
	v_add_co_u32_e32 v4, vcc, v2, v4
	v_addc_co_u32_e32 v5, vcc, v3, v5, vcc
	v_ashrrev_i32_e32 v6, 31, v1
	v_add_co_u32_e32 v2, vcc, v0, v6
	v_addc_co_u32_e32 v3, vcc, v1, v6, vcc
	v_xor_b32_e32 v8, v2, v6
	v_xor_b32_e32 v7, v3, v6
	v_mad_u64_u32 v[2:3], s[0:1], v8, v5, 0
	v_mul_hi_u32 v9, v8, v4
	v_add_co_u32_e32 v9, vcc, v9, v2
	v_addc_co_u32_e32 v10, vcc, 0, v3, vcc
	v_mad_u64_u32 v[2:3], s[0:1], v7, v5, 0
	v_mad_u64_u32 v[4:5], s[0:1], v7, v4, 0
	v_add_co_u32_e32 v4, vcc, v9, v4
	v_addc_co_u32_e32 v4, vcc, v10, v5, vcc
	v_addc_co_u32_e32 v3, vcc, 0, v3, vcc
	v_add_co_u32_e32 v4, vcc, v4, v2
	v_addc_co_u32_e32 v5, vcc, 0, v3, vcc
	v_mul_lo_u32 v9, s17, v4
	v_mul_lo_u32 v10, s16, v5
	v_mad_u64_u32 v[2:3], s[0:1], s16, v4, 0
	v_add3_u32 v3, v3, v10, v9
	v_sub_u32_e32 v9, v7, v3
	v_mov_b32_e32 v10, s17
	v_sub_co_u32_e32 v2, vcc, v8, v2
	v_subb_co_u32_e64 v8, s[0:1], v9, v10, vcc
	v_subrev_co_u32_e64 v9, s[0:1], s16, v2
	v_subbrev_co_u32_e64 v8, s[0:1], 0, v8, s[0:1]
	v_cmp_le_u32_e64 s[0:1], s17, v8
	v_cndmask_b32_e64 v10, 0, -1, s[0:1]
	v_cmp_le_u32_e64 s[0:1], s16, v9
	v_cndmask_b32_e64 v9, 0, -1, s[0:1]
	v_cmp_eq_u32_e64 s[0:1], s17, v8
	v_cndmask_b32_e64 v8, v10, v9, s[0:1]
	v_add_co_u32_e64 v9, s[0:1], 2, v4
	v_subb_co_u32_e32 v3, vcc, v7, v3, vcc
	v_addc_co_u32_e64 v10, s[0:1], 0, v5, s[0:1]
	v_cmp_le_u32_e32 vcc, s17, v3
	v_add_co_u32_e64 v11, s[0:1], 1, v4
	v_cndmask_b32_e64 v7, 0, -1, vcc
	v_cmp_le_u32_e32 vcc, s16, v2
	v_addc_co_u32_e64 v12, s[0:1], 0, v5, s[0:1]
	v_cndmask_b32_e64 v2, 0, -1, vcc
	v_cmp_eq_u32_e32 vcc, s17, v3
	v_cmp_ne_u32_e64 s[0:1], 0, v8
	v_cndmask_b32_e32 v2, v7, v2, vcc
	v_cndmask_b32_e64 v8, v12, v10, s[0:1]
	v_cmp_ne_u32_e32 vcc, 0, v2
	v_cndmask_b32_e64 v3, v11, v9, s[0:1]
	v_cndmask_b32_e32 v2, v5, v8, vcc
	v_cndmask_b32_e32 v3, v4, v3, vcc
	v_xor_b32_e32 v5, s12, v6
	v_xor_b32_e32 v3, v3, v5
	;; [unrolled: 1-line block ×3, first 2 shown]
	v_sub_co_u32_e32 v4, vcc, v3, v5
	v_subb_co_u32_e32 v5, vcc, v2, v5, vcc
.LBB64_3:
	s_andn2_saveexec_b64 s[0:1], s[2:3]
	s_cbranch_execz .LBB64_5
; %bb.4:
	v_cvt_f32_u32_e32 v2, s10
	s_sub_i32 s2, 0, s10
	v_rcp_iflag_f32_e32 v2, v2
	v_mul_f32_e32 v2, 0x4f7ffffe, v2
	v_cvt_u32_f32_e32 v2, v2
	v_mul_lo_u32 v3, s2, v2
	v_mul_hi_u32 v3, v2, v3
	v_add_u32_e32 v2, v2, v3
	v_mul_hi_u32 v2, v0, v2
	v_mul_lo_u32 v3, v2, s10
	v_sub_u32_e32 v3, v0, v3
	v_add_u32_e32 v4, 1, v2
	v_subrev_u32_e32 v5, s10, v3
	v_cmp_le_u32_e32 vcc, s10, v3
	v_cndmask_b32_e32 v3, v3, v5, vcc
	v_cndmask_b32_e32 v2, v2, v4, vcc
	v_add_u32_e32 v4, 1, v2
	v_cmp_le_u32_e32 vcc, s10, v3
	v_cndmask_b32_e32 v4, v2, v4, vcc
	v_mov_b32_e32 v5, 0
.LBB64_5:
	s_or_b64 exec, exec, s[0:1]
	v_or_b32_e32 v3, s15, v5
	v_mov_b32_e32 v2, 0
	v_cmp_ne_u64_e32 vcc, 0, v[2:3]
                                        ; implicit-def: $vgpr2_vgpr3
	s_and_saveexec_b64 s[0:1], vcc
	s_xor_b64 s[12:13], exec, s[0:1]
	s_cbranch_execz .LBB64_7
; %bb.6:
	s_ashr_i32 s0, s15, 31
	s_add_u32 s2, s14, s0
	s_mov_b32 s1, s0
	s_addc_u32 s3, s15, s0
	s_xor_b64 s[16:17], s[2:3], s[0:1]
	v_cvt_f32_u32_e32 v2, s16
	v_cvt_f32_u32_e32 v3, s17
	s_sub_u32 s0, 0, s16
	s_subb_u32 s1, 0, s17
	v_madmk_f32 v2, v3, 0x4f800000, v2
	v_rcp_f32_e32 v2, v2
	v_mul_f32_e32 v2, 0x5f7ffffc, v2
	v_mul_f32_e32 v3, 0x2f800000, v2
	v_trunc_f32_e32 v3, v3
	v_madmk_f32 v2, v3, 0xcf800000, v2
	v_cvt_u32_f32_e32 v3, v3
	v_cvt_u32_f32_e32 v2, v2
	v_mul_lo_u32 v6, s0, v3
	v_mul_hi_u32 v8, s0, v2
	v_mul_lo_u32 v7, s1, v2
	v_add_u32_e32 v6, v8, v6
	v_mul_lo_u32 v9, s0, v2
	v_add_u32_e32 v6, v6, v7
	v_mul_lo_u32 v8, v2, v6
	v_mul_hi_u32 v10, v2, v9
	v_mul_hi_u32 v7, v2, v6
	v_add_co_u32_e32 v8, vcc, v10, v8
	v_addc_co_u32_e32 v7, vcc, 0, v7, vcc
	v_mul_hi_u32 v11, v3, v9
	v_mul_lo_u32 v9, v3, v9
	v_add_co_u32_e32 v8, vcc, v8, v9
	v_mul_hi_u32 v10, v3, v6
	v_addc_co_u32_e32 v7, vcc, v7, v11, vcc
	v_addc_co_u32_e32 v8, vcc, 0, v10, vcc
	v_mul_lo_u32 v6, v3, v6
	v_add_co_u32_e32 v6, vcc, v7, v6
	v_addc_co_u32_e32 v7, vcc, 0, v8, vcc
	v_add_co_u32_e32 v2, vcc, v2, v6
	v_addc_co_u32_e32 v3, vcc, v3, v7, vcc
	v_mul_lo_u32 v6, s0, v3
	v_mul_hi_u32 v7, s0, v2
	v_add_u32_e32 v6, v7, v6
	v_mul_lo_u32 v7, s1, v2
	v_add_u32_e32 v6, v6, v7
	v_mul_lo_u32 v8, s0, v2
	v_mul_hi_u32 v9, v3, v8
	v_mul_lo_u32 v10, v3, v8
	v_mul_lo_u32 v12, v2, v6
	v_mul_hi_u32 v8, v2, v8
	v_mul_hi_u32 v11, v2, v6
	v_add_co_u32_e32 v8, vcc, v8, v12
	v_addc_co_u32_e32 v11, vcc, 0, v11, vcc
	v_add_co_u32_e32 v8, vcc, v8, v10
	v_mul_hi_u32 v7, v3, v6
	v_addc_co_u32_e32 v8, vcc, v11, v9, vcc
	v_addc_co_u32_e32 v7, vcc, 0, v7, vcc
	v_mul_lo_u32 v6, v3, v6
	v_add_co_u32_e32 v6, vcc, v8, v6
	v_addc_co_u32_e32 v7, vcc, 0, v7, vcc
	v_add_co_u32_e32 v6, vcc, v2, v6
	v_addc_co_u32_e32 v7, vcc, v3, v7, vcc
	v_ashrrev_i32_e32 v8, 31, v5
	v_add_co_u32_e32 v2, vcc, v4, v8
	v_addc_co_u32_e32 v3, vcc, v5, v8, vcc
	v_xor_b32_e32 v10, v2, v8
	v_xor_b32_e32 v9, v3, v8
	v_mad_u64_u32 v[2:3], s[0:1], v10, v7, 0
	v_mul_hi_u32 v11, v10, v6
	v_add_co_u32_e32 v11, vcc, v11, v2
	v_addc_co_u32_e32 v12, vcc, 0, v3, vcc
	v_mad_u64_u32 v[2:3], s[0:1], v9, v7, 0
	v_mad_u64_u32 v[6:7], s[0:1], v9, v6, 0
	v_add_co_u32_e32 v6, vcc, v11, v6
	v_addc_co_u32_e32 v6, vcc, v12, v7, vcc
	v_addc_co_u32_e32 v3, vcc, 0, v3, vcc
	v_add_co_u32_e32 v2, vcc, v6, v2
	v_addc_co_u32_e32 v3, vcc, 0, v3, vcc
	v_mul_lo_u32 v6, s17, v2
	v_mul_lo_u32 v7, s16, v3
	v_mad_u64_u32 v[2:3], s[0:1], s16, v2, 0
	v_add3_u32 v3, v3, v7, v6
	v_sub_u32_e32 v6, v9, v3
	v_mov_b32_e32 v7, s17
	v_sub_co_u32_e32 v2, vcc, v10, v2
	v_subb_co_u32_e64 v6, s[0:1], v6, v7, vcc
	v_subrev_co_u32_e64 v10, s[0:1], s16, v2
	v_subbrev_co_u32_e64 v11, s[2:3], 0, v6, s[0:1]
	v_cmp_le_u32_e64 s[2:3], s17, v11
	v_cndmask_b32_e64 v12, 0, -1, s[2:3]
	v_cmp_le_u32_e64 s[2:3], s16, v10
	v_subb_co_u32_e64 v6, s[0:1], v6, v7, s[0:1]
	v_cndmask_b32_e64 v13, 0, -1, s[2:3]
	v_cmp_eq_u32_e64 s[2:3], s17, v11
	v_subrev_co_u32_e64 v7, s[0:1], s16, v10
	v_subb_co_u32_e32 v3, vcc, v9, v3, vcc
	v_cndmask_b32_e64 v12, v12, v13, s[2:3]
	v_subbrev_co_u32_e64 v6, s[0:1], 0, v6, s[0:1]
	v_cmp_le_u32_e32 vcc, s17, v3
	v_cmp_ne_u32_e64 s[0:1], 0, v12
	v_cndmask_b32_e64 v9, 0, -1, vcc
	v_cmp_le_u32_e32 vcc, s16, v2
	v_cndmask_b32_e64 v6, v11, v6, s[0:1]
	v_cndmask_b32_e64 v11, 0, -1, vcc
	v_cmp_eq_u32_e32 vcc, s17, v3
	v_cndmask_b32_e32 v9, v9, v11, vcc
	v_cmp_ne_u32_e32 vcc, 0, v9
	v_cndmask_b32_e32 v3, v3, v6, vcc
	v_cndmask_b32_e64 v6, v10, v7, s[0:1]
	v_cndmask_b32_e32 v2, v2, v6, vcc
	v_xor_b32_e32 v2, v2, v8
	v_xor_b32_e32 v3, v3, v8
	v_sub_co_u32_e32 v2, vcc, v2, v8
	v_subb_co_u32_e32 v3, vcc, v3, v8, vcc
.LBB64_7:
	s_or_saveexec_b64 s[0:1], s[12:13]
	s_load_dwordx2 s[2:3], s[4:5], 0xa8
	s_load_dwordx8 s[36:43], s[4:5], 0x88
	s_xor_b64 exec, exec, s[0:1]
	s_cbranch_execz .LBB64_9
; %bb.8:
	v_cvt_f32_u32_e32 v2, s14
	s_sub_i32 s12, 0, s14
	v_rcp_iflag_f32_e32 v2, v2
	v_mul_f32_e32 v2, 0x4f7ffffe, v2
	v_cvt_u32_f32_e32 v2, v2
	v_mul_lo_u32 v3, s12, v2
	v_mul_hi_u32 v3, v2, v3
	v_add_u32_e32 v2, v2, v3
	v_mul_hi_u32 v2, v4, v2
	v_mul_lo_u32 v2, v2, s14
	v_sub_u32_e32 v2, v4, v2
	v_subrev_u32_e32 v3, s14, v2
	v_cmp_le_u32_e32 vcc, s14, v2
	v_cndmask_b32_e32 v2, v2, v3, vcc
	v_subrev_u32_e32 v3, s14, v2
	v_cmp_le_u32_e32 vcc, s14, v2
	v_cndmask_b32_e32 v2, v2, v3, vcc
	v_mov_b32_e32 v3, 0
.LBB64_9:
	s_or_b64 exec, exec, s[0:1]
	s_load_dwordx2 s[28:29], s[4:5], 0x58
	s_load_dwordx2 s[30:31], s[4:5], 0x0
	v_or_b32_e32 v7, s9, v1
	v_mov_b32_e32 v6, 0
	v_cmp_ne_u64_e32 vcc, 0, v[6:7]
                                        ; implicit-def: $vgpr6_vgpr7
	s_and_saveexec_b64 s[0:1], vcc
	s_xor_b64 s[12:13], exec, s[0:1]
	s_cbranch_execz .LBB64_11
; %bb.10:
	s_ashr_i32 s14, s9, 31
	s_add_u32 s0, s6, s14
	s_mov_b32 s15, s14
	s_addc_u32 s1, s9, s14
	s_xor_b64 s[16:17], s[0:1], s[14:15]
	v_cvt_f32_u32_e32 v6, s16
	v_cvt_f32_u32_e32 v7, s17
	s_sub_u32 s0, 0, s16
	s_subb_u32 s1, 0, s17
	v_madmk_f32 v6, v7, 0x4f800000, v6
	v_rcp_f32_e32 v6, v6
	v_mul_f32_e32 v6, 0x5f7ffffc, v6
	v_mul_f32_e32 v7, 0x2f800000, v6
	v_trunc_f32_e32 v7, v7
	v_madmk_f32 v6, v7, 0xcf800000, v6
	v_cvt_u32_f32_e32 v7, v7
	v_cvt_u32_f32_e32 v6, v6
	v_mul_lo_u32 v8, s0, v7
	v_mul_hi_u32 v10, s0, v6
	v_mul_lo_u32 v9, s1, v6
	v_add_u32_e32 v8, v10, v8
	v_mul_lo_u32 v11, s0, v6
	v_add_u32_e32 v8, v8, v9
	v_mul_lo_u32 v10, v6, v8
	v_mul_hi_u32 v12, v6, v11
	v_mul_hi_u32 v9, v6, v8
	v_add_co_u32_e32 v10, vcc, v12, v10
	v_addc_co_u32_e32 v9, vcc, 0, v9, vcc
	v_mul_hi_u32 v13, v7, v11
	v_mul_lo_u32 v11, v7, v11
	v_add_co_u32_e32 v10, vcc, v10, v11
	v_mul_hi_u32 v12, v7, v8
	v_addc_co_u32_e32 v9, vcc, v9, v13, vcc
	v_addc_co_u32_e32 v10, vcc, 0, v12, vcc
	v_mul_lo_u32 v8, v7, v8
	v_add_co_u32_e32 v8, vcc, v9, v8
	v_addc_co_u32_e32 v9, vcc, 0, v10, vcc
	v_add_co_u32_e32 v6, vcc, v6, v8
	v_addc_co_u32_e32 v7, vcc, v7, v9, vcc
	v_mul_lo_u32 v8, s0, v7
	v_mul_hi_u32 v9, s0, v6
	v_add_u32_e32 v8, v9, v8
	v_mul_lo_u32 v9, s1, v6
	v_add_u32_e32 v8, v8, v9
	v_mul_lo_u32 v10, s0, v6
	v_mul_hi_u32 v11, v7, v10
	v_mul_lo_u32 v12, v7, v10
	v_mul_lo_u32 v14, v6, v8
	v_mul_hi_u32 v10, v6, v10
	v_mul_hi_u32 v13, v6, v8
	v_add_co_u32_e32 v10, vcc, v10, v14
	v_addc_co_u32_e32 v13, vcc, 0, v13, vcc
	v_add_co_u32_e32 v10, vcc, v10, v12
	v_mul_hi_u32 v9, v7, v8
	v_addc_co_u32_e32 v10, vcc, v13, v11, vcc
	v_addc_co_u32_e32 v9, vcc, 0, v9, vcc
	v_mul_lo_u32 v8, v7, v8
	v_add_co_u32_e32 v8, vcc, v10, v8
	v_addc_co_u32_e32 v9, vcc, 0, v9, vcc
	v_add_co_u32_e32 v8, vcc, v6, v8
	v_addc_co_u32_e32 v9, vcc, v7, v9, vcc
	v_ashrrev_i32_e32 v10, 31, v1
	v_add_co_u32_e32 v6, vcc, v0, v10
	v_addc_co_u32_e32 v7, vcc, v1, v10, vcc
	v_xor_b32_e32 v12, v6, v10
	v_xor_b32_e32 v11, v7, v10
	v_mad_u64_u32 v[6:7], s[0:1], v12, v9, 0
	v_mul_hi_u32 v13, v12, v8
	v_add_co_u32_e32 v13, vcc, v13, v6
	v_addc_co_u32_e32 v14, vcc, 0, v7, vcc
	v_mad_u64_u32 v[6:7], s[0:1], v11, v9, 0
	v_mad_u64_u32 v[8:9], s[0:1], v11, v8, 0
	v_add_co_u32_e32 v8, vcc, v13, v8
	v_addc_co_u32_e32 v8, vcc, v14, v9, vcc
	v_addc_co_u32_e32 v7, vcc, 0, v7, vcc
	v_add_co_u32_e32 v8, vcc, v8, v6
	v_addc_co_u32_e32 v9, vcc, 0, v7, vcc
	v_mul_lo_u32 v13, s17, v8
	v_mul_lo_u32 v14, s16, v9
	v_mad_u64_u32 v[6:7], s[0:1], s16, v8, 0
	v_add3_u32 v7, v7, v14, v13
	v_sub_u32_e32 v13, v11, v7
	v_mov_b32_e32 v14, s17
	v_sub_co_u32_e32 v6, vcc, v12, v6
	v_subb_co_u32_e64 v12, s[0:1], v13, v14, vcc
	v_subrev_co_u32_e64 v13, s[0:1], s16, v6
	v_subbrev_co_u32_e64 v12, s[0:1], 0, v12, s[0:1]
	v_cmp_le_u32_e64 s[0:1], s17, v12
	v_cndmask_b32_e64 v14, 0, -1, s[0:1]
	v_cmp_le_u32_e64 s[0:1], s16, v13
	v_cndmask_b32_e64 v13, 0, -1, s[0:1]
	v_cmp_eq_u32_e64 s[0:1], s17, v12
	v_cndmask_b32_e64 v12, v14, v13, s[0:1]
	v_add_co_u32_e64 v13, s[0:1], 2, v8
	v_subb_co_u32_e32 v7, vcc, v11, v7, vcc
	v_addc_co_u32_e64 v14, s[0:1], 0, v9, s[0:1]
	v_cmp_le_u32_e32 vcc, s17, v7
	v_add_co_u32_e64 v15, s[0:1], 1, v8
	v_cndmask_b32_e64 v11, 0, -1, vcc
	v_cmp_le_u32_e32 vcc, s16, v6
	v_addc_co_u32_e64 v16, s[0:1], 0, v9, s[0:1]
	v_cndmask_b32_e64 v6, 0, -1, vcc
	v_cmp_eq_u32_e32 vcc, s17, v7
	v_cmp_ne_u32_e64 s[0:1], 0, v12
	v_cndmask_b32_e32 v6, v11, v6, vcc
	v_cndmask_b32_e64 v12, v16, v14, s[0:1]
	v_cmp_ne_u32_e32 vcc, 0, v6
	v_cndmask_b32_e64 v7, v15, v13, s[0:1]
	v_cndmask_b32_e32 v6, v9, v12, vcc
	v_cndmask_b32_e32 v7, v8, v7, vcc
	v_xor_b32_e32 v8, s14, v10
	v_xor_b32_e32 v9, v6, v8
	;; [unrolled: 1-line block ×3, first 2 shown]
	v_sub_co_u32_e32 v6, vcc, v6, v8
	v_subb_co_u32_e32 v7, vcc, v9, v8, vcc
.LBB64_11:
	s_or_saveexec_b64 s[0:1], s[12:13]
	s_load_dwordx16 s[12:27], s[4:5], 0x18
	s_xor_b64 exec, exec, s[0:1]
	s_cbranch_execz .LBB64_13
; %bb.12:
	v_cvt_f32_u32_e32 v6, s6
	s_sub_i32 s9, 0, s6
	v_rcp_iflag_f32_e32 v6, v6
	v_mul_f32_e32 v6, 0x4f7ffffe, v6
	v_cvt_u32_f32_e32 v6, v6
	v_mul_lo_u32 v7, s9, v6
	v_mul_hi_u32 v7, v6, v7
	v_add_u32_e32 v6, v6, v7
	v_mul_hi_u32 v6, v0, v6
	v_mul_lo_u32 v7, v6, s6
	v_sub_u32_e32 v7, v0, v7
	v_add_u32_e32 v8, 1, v6
	v_subrev_u32_e32 v9, s6, v7
	v_cmp_le_u32_e32 vcc, s6, v7
	v_cndmask_b32_e32 v7, v7, v9, vcc
	v_cndmask_b32_e32 v6, v6, v8, vcc
	v_add_u32_e32 v8, 1, v6
	v_cmp_le_u32_e32 vcc, s6, v7
	v_cndmask_b32_e32 v6, v6, v8, vcc
	v_mov_b32_e32 v7, 0
.LBB64_13:
	s_or_b64 exec, exec, s[0:1]
	s_load_dwordx8 s[44:51], s[4:5], 0xb0
	v_mul_lo_u32 v8, v5, s10
	v_mul_lo_u32 v9, v4, s11
	v_mad_u64_u32 v[4:5], s[0:1], v4, s10, 0
	s_load_dwordx2 s[0:1], s[4:5], 0xd0
	s_waitcnt lgkmcnt(0)
	s_sub_u32 s4, 0, s44
	s_subb_u32 s5, 0, s45
	s_sub_u32 s10, 0, s46
	s_subb_u32 s11, 0, s47
	;; [unrolled: 2-line block ×3, first 2 shown]
	v_cmp_gt_i64_e64 s[52:53], s[4:5], 0
	s_and_b64 s[52:53], s[52:53], exec
	s_cselect_b32 s6, s5, 0
	s_cselect_b32 s9, s4, 0
	v_cmp_gt_i64_e64 s[4:5], s[44:45], 0
	s_and_b64 s[4:5], s[4:5], exec
	v_cmp_gt_i64_e64 s[4:5], s[10:11], 0
	s_cselect_b32 s53, s45, 0
	s_cselect_b32 s52, s44, 0
	s_and_b64 s[4:5], s[4:5], exec
	v_add3_u32 v5, v5, v9, v8
	v_sub_co_u32_e32 v0, vcc, v0, v4
	v_cmp_gt_i64_e64 s[4:5], s[46:47], 0
	v_subb_co_u32_e32 v1, vcc, v1, v5, vcc
	s_cselect_b32 s33, s11, 0
	s_cselect_b32 s54, s10, 0
	s_and_b64 s[4:5], s[4:5], exec
	v_cmp_gt_i64_e64 s[4:5], s[34:35], 0
	v_mov_b32_e32 v5, s45
	v_subrev_co_u32_e32 v4, vcc, s44, v0
	s_cselect_b32 s11, s47, 0
	s_cselect_b32 s10, s46, 0
	s_and_b64 s[4:5], s[4:5], exec
	v_subb_co_u32_e32 v5, vcc, v1, v5, vcc
	v_cmp_gt_i64_e64 s[4:5], s[48:49], 0
	v_ashrrev_i32_e32 v8, 31, v5
	s_cselect_b32 s55, s35, 0
	s_cselect_b32 s56, s34, 0
	s_and_b64 s[4:5], s[4:5], exec
	v_xor_b32_e32 v4, v4, v8
	s_cselect_b32 s5, s49, 0
	s_cselect_b32 s4, s48, 0
	v_xor_b32_e32 v5, v5, v8
	v_sub_co_u32_e32 v9, vcc, v4, v8
	s_add_u32 s34, s16, s44
	v_subb_co_u32_e32 v8, vcc, v5, v8, vcc
	s_addc_u32 s35, s17, s45
	v_mov_b32_e32 v5, s35
	v_subrev_co_u32_e32 v4, vcc, s34, v0
	v_subb_co_u32_e32 v5, vcc, v1, v5, vcc
	v_add_co_u32_e32 v4, vcc, 1, v4
	v_addc_co_u32_e32 v5, vcc, 0, v5, vcc
	s_lshl_b64 s[34:35], s[44:45], 1
	s_not_b64 s[44:45], s[52:53]
	v_ashrrev_i32_e32 v10, 31, v5
	s_add_u32 s34, s34, s44
	v_xor_b32_e32 v4, v4, v10
	s_addc_u32 s35, s35, s45
	v_xor_b32_e32 v5, v5, v10
	v_sub_co_u32_e32 v4, vcc, v4, v10
	s_add_u32 s9, s34, s9
	v_subb_co_u32_e32 v5, vcc, v5, v10, vcc
	s_addc_u32 s6, s35, s6
	s_add_u32 s9, s9, s16
	v_add_co_u32_e32 v4, vcc, v0, v4
	s_addc_u32 s6, s6, s17
	v_addc_co_u32_e32 v5, vcc, v1, v5, vcc
	v_mov_b32_e32 v10, s6
	v_sub_co_u32_e32 v4, vcc, s9, v4
	v_subb_co_u32_e32 v5, vcc, v10, v5, vcc
	v_add_co_u32_e32 v9, vcc, v4, v9
	v_addc_co_u32_e32 v8, vcc, v5, v8, vcc
	v_mov_b32_e32 v4, s47
	v_subrev_co_u32_e32 v5, vcc, s46, v2
	v_subb_co_u32_e32 v4, vcc, v3, v4, vcc
	v_ashrrev_i32_e32 v10, 31, v4
	v_xor_b32_e32 v5, v5, v10
	v_xor_b32_e32 v4, v4, v10
	v_sub_co_u32_e32 v5, vcc, v5, v10
	s_add_u32 s6, s14, s46
	v_subb_co_u32_e32 v4, vcc, v4, v10, vcc
	s_addc_u32 s9, s15, s47
	v_mov_b32_e32 v10, s9
	v_subrev_co_u32_e32 v11, vcc, s6, v2
	v_subb_co_u32_e32 v10, vcc, v3, v10, vcc
	v_add_co_u32_e32 v11, vcc, 1, v11
	v_addc_co_u32_e32 v10, vcc, 0, v10, vcc
	s_lshl_b64 s[16:17], s[46:47], 1
	s_not_b64 s[10:11], s[10:11]
	v_ashrrev_i32_e32 v12, 31, v10
	s_add_u32 s6, s16, s10
	v_xor_b32_e32 v11, v11, v12
	s_addc_u32 s9, s17, s11
	v_xor_b32_e32 v10, v10, v12
	v_sub_co_u32_e32 v11, vcc, v11, v12
	s_add_u32 s6, s6, s54
	v_subb_co_u32_e32 v10, vcc, v10, v12, vcc
	s_addc_u32 s9, s9, s33
	s_add_u32 s6, s6, s14
	v_add_co_u32_e32 v11, vcc, v2, v11
	s_addc_u32 s9, s9, s15
	v_addc_co_u32_e32 v10, vcc, v3, v10, vcc
	v_mov_b32_e32 v12, s9
	v_sub_co_u32_e32 v11, vcc, s6, v11
	v_subb_co_u32_e32 v10, vcc, v12, v10, vcc
	v_add_co_u32_e32 v11, vcc, v11, v5
	v_addc_co_u32_e32 v10, vcc, v10, v4, vcc
	v_mov_b32_e32 v4, s49
	v_subrev_co_u32_e32 v5, vcc, s48, v6
	v_subb_co_u32_e32 v4, vcc, v7, v4, vcc
	v_ashrrev_i32_e32 v12, 31, v4
	v_xor_b32_e32 v5, v5, v12
	v_xor_b32_e32 v4, v4, v12
	v_sub_co_u32_e32 v5, vcc, v5, v12
	s_add_u32 s6, s12, s48
	v_subb_co_u32_e32 v4, vcc, v4, v12, vcc
	s_addc_u32 s9, s13, s49
	v_mov_b32_e32 v12, s9
	v_subrev_co_u32_e32 v13, vcc, s6, v6
	v_subb_co_u32_e32 v12, vcc, v7, v12, vcc
	v_add_co_u32_e32 v13, vcc, 1, v13
	v_addc_co_u32_e32 v12, vcc, 0, v12, vcc
	s_lshl_b64 s[10:11], s[48:49], 1
	s_not_b64 s[4:5], s[4:5]
	v_ashrrev_i32_e32 v14, 31, v12
	s_add_u32 s4, s10, s4
	v_xor_b32_e32 v13, v13, v14
	s_addc_u32 s5, s11, s5
	v_xor_b32_e32 v12, v12, v14
	v_sub_co_u32_e32 v13, vcc, v13, v14
	s_add_u32 s4, s4, s56
	v_subb_co_u32_e32 v12, vcc, v12, v14, vcc
	s_addc_u32 s5, s5, s55
	s_add_u32 s4, s4, s12
	v_add_co_u32_e32 v13, vcc, v6, v13
	s_addc_u32 s5, s5, s13
	v_addc_co_u32_e32 v12, vcc, v7, v12, vcc
	v_sub_co_u32_e32 v13, vcc, s4, v13
	s_add_u32 s4, s7, s50
	v_mov_b32_e32 v14, s5
	s_addc_u32 s5, 0, s51
	s_add_u32 s6, s8, s0
	s_addc_u32 s7, 0, s1
	s_mul_i32 s0, s18, s7
	s_mul_hi_u32 s1, s18, s6
	s_add_i32 s0, s1, s0
	s_mul_i32 s1, s19, s6
	s_add_i32 s1, s0, s1
	s_mul_i32 s0, s18, s6
	s_lshl_b64 s[0:1], s[0:1], 4
	s_add_u32 s8, s30, s0
	s_addc_u32 s9, s31, s1
	s_mul_i32 s0, s20, s5
	s_mul_hi_u32 s1, s20, s4
	s_add_i32 s0, s1, s0
	s_mul_i32 s1, s21, s4
	v_subb_co_u32_e32 v12, vcc, v14, v12, vcc
	s_add_i32 s1, s0, s1
	s_mul_i32 s0, s20, s4
	v_add_co_u32_e32 v5, vcc, v13, v5
	s_lshl_b64 s[0:1], s[0:1], 4
	v_addc_co_u32_e32 v4, vcc, v12, v4, vcc
	s_add_u32 s8, s8, s0
	s_addc_u32 s9, s9, s1
	v_mul_lo_u32 v12, v4, s22
	v_mul_lo_u32 v13, v5, s23
	v_mad_u64_u32 v[4:5], s[0:1], v5, s22, 0
	v_add3_u32 v5, v5, v13, v12
	v_lshlrev_b64 v[4:5], 4, v[4:5]
	v_mov_b32_e32 v12, s9
	v_add_co_u32_e32 v13, vcc, s8, v4
	v_addc_co_u32_e32 v12, vcc, v12, v5, vcc
	v_mul_lo_u32 v10, v10, s24
	v_mul_lo_u32 v14, v11, s25
	v_mad_u64_u32 v[4:5], s[0:1], v11, s24, 0
	v_add3_u32 v5, v5, v14, v10
	v_lshlrev_b64 v[4:5], 4, v[4:5]
	v_add_co_u32_e32 v10, vcc, v13, v4
	v_addc_co_u32_e32 v11, vcc, v12, v5, vcc
	v_mul_lo_u32 v8, v8, s26
	v_mul_lo_u32 v12, v9, s27
	v_mad_u64_u32 v[4:5], s[0:1], v9, s26, 0
	v_add3_u32 v5, v5, v12, v8
	v_lshlrev_b64 v[4:5], 4, v[4:5]
	v_add_co_u32_e32 v4, vcc, v10, v4
	v_addc_co_u32_e32 v5, vcc, v11, v5, vcc
	global_load_dwordx4 v[8:11], v[4:5], off
	s_mul_i32 s0, s36, s7
	s_mul_hi_u32 s1, s36, s6
	s_add_i32 s0, s1, s0
	s_mul_i32 s1, s37, s6
	s_add_i32 s1, s0, s1
	s_mul_i32 s0, s36, s6
	s_lshl_b64 s[0:1], s[0:1], 4
	s_add_u32 s6, s28, s0
	s_addc_u32 s7, s29, s1
	s_mul_i32 s0, s38, s5
	s_mul_hi_u32 s1, s38, s4
	s_add_i32 s0, s1, s0
	s_mul_i32 s1, s39, s4
	s_add_i32 s1, s0, s1
	s_mul_i32 s0, s38, s4
	s_lshl_b64 s[0:1], s[0:1], 4
	s_add_u32 s4, s6, s0
	s_addc_u32 s5, s7, s1
	v_mul_lo_u32 v7, v7, s40
	v_mul_lo_u32 v12, v6, s41
	v_mad_u64_u32 v[4:5], s[0:1], v6, s40, 0
	v_add3_u32 v5, v5, v12, v7
	v_lshlrev_b64 v[4:5], 4, v[4:5]
	v_mov_b32_e32 v6, s5
	v_add_co_u32_e32 v4, vcc, s4, v4
	v_addc_co_u32_e32 v5, vcc, v6, v5, vcc
	v_mul_lo_u32 v6, v3, s42
	v_mul_lo_u32 v7, v2, s43
	v_mad_u64_u32 v[2:3], s[0:1], v2, s42, 0
	v_add3_u32 v3, v3, v7, v6
	v_lshlrev_b64 v[2:3], 4, v[2:3]
	v_add_co_u32_e32 v2, vcc, v4, v2
	v_addc_co_u32_e32 v3, vcc, v5, v3, vcc
	v_mul_lo_u32 v4, v1, s2
	v_mul_lo_u32 v5, v0, s3
	v_mad_u64_u32 v[0:1], s[0:1], v0, s2, 0
	v_add3_u32 v1, v1, v5, v4
	v_lshlrev_b64 v[0:1], 4, v[0:1]
	v_add_co_u32_e32 v0, vcc, v2, v0
	v_addc_co_u32_e32 v1, vcc, v3, v1, vcc
	s_waitcnt vmcnt(0)
	global_store_dwordx4 v[0:1], v[8:11], off
.LBB64_14:
	s_endpgm
	.section	.rodata,"a",@progbits
	.p2align	6, 0x0
	.amdhsa_kernel _ZN2at6native12_GLOBAL__N_127reflection_pad3d_out_kernelIN3c107complexIdEEEEvN5torch10headeronly6detail27GenericPackedTensorAccessorINS8_14TensorAccessorINS3_8ArrayRefIlEEKT_Lm4ENS7_16DefaultPtrTraitsElEENS_6detail16IndexBoundsCheckILm5ElEESE_Lm5ESF_lEENS9_INSA_ISC_SD_Lm4ESF_lEESJ_SD_Lm5ESF_lEElllll
		.amdhsa_group_segment_fixed_size 0
		.amdhsa_private_segment_fixed_size 0
		.amdhsa_kernarg_size 472
		.amdhsa_user_sgpr_count 6
		.amdhsa_user_sgpr_private_segment_buffer 1
		.amdhsa_user_sgpr_dispatch_ptr 0
		.amdhsa_user_sgpr_queue_ptr 0
		.amdhsa_user_sgpr_kernarg_segment_ptr 1
		.amdhsa_user_sgpr_dispatch_id 0
		.amdhsa_user_sgpr_flat_scratch_init 0
		.amdhsa_user_sgpr_kernarg_preload_length 0
		.amdhsa_user_sgpr_kernarg_preload_offset 0
		.amdhsa_user_sgpr_private_segment_size 0
		.amdhsa_uses_dynamic_stack 0
		.amdhsa_system_sgpr_private_segment_wavefront_offset 0
		.amdhsa_system_sgpr_workgroup_id_x 1
		.amdhsa_system_sgpr_workgroup_id_y 1
		.amdhsa_system_sgpr_workgroup_id_z 1
		.amdhsa_system_sgpr_workgroup_info 0
		.amdhsa_system_vgpr_workitem_id 0
		.amdhsa_next_free_vgpr 17
		.amdhsa_next_free_sgpr 57
		.amdhsa_accum_offset 20
		.amdhsa_reserve_vcc 1
		.amdhsa_reserve_flat_scratch 0
		.amdhsa_float_round_mode_32 0
		.amdhsa_float_round_mode_16_64 0
		.amdhsa_float_denorm_mode_32 3
		.amdhsa_float_denorm_mode_16_64 3
		.amdhsa_dx10_clamp 1
		.amdhsa_ieee_mode 1
		.amdhsa_fp16_overflow 0
		.amdhsa_tg_split 0
		.amdhsa_exception_fp_ieee_invalid_op 0
		.amdhsa_exception_fp_denorm_src 0
		.amdhsa_exception_fp_ieee_div_zero 0
		.amdhsa_exception_fp_ieee_overflow 0
		.amdhsa_exception_fp_ieee_underflow 0
		.amdhsa_exception_fp_ieee_inexact 0
		.amdhsa_exception_int_div_zero 0
	.end_amdhsa_kernel
	.section	.text._ZN2at6native12_GLOBAL__N_127reflection_pad3d_out_kernelIN3c107complexIdEEEEvN5torch10headeronly6detail27GenericPackedTensorAccessorINS8_14TensorAccessorINS3_8ArrayRefIlEEKT_Lm4ENS7_16DefaultPtrTraitsElEENS_6detail16IndexBoundsCheckILm5ElEESE_Lm5ESF_lEENS9_INSA_ISC_SD_Lm4ESF_lEESJ_SD_Lm5ESF_lEElllll,"axG",@progbits,_ZN2at6native12_GLOBAL__N_127reflection_pad3d_out_kernelIN3c107complexIdEEEEvN5torch10headeronly6detail27GenericPackedTensorAccessorINS8_14TensorAccessorINS3_8ArrayRefIlEEKT_Lm4ENS7_16DefaultPtrTraitsElEENS_6detail16IndexBoundsCheckILm5ElEESE_Lm5ESF_lEENS9_INSA_ISC_SD_Lm4ESF_lEESJ_SD_Lm5ESF_lEElllll,comdat
.Lfunc_end64:
	.size	_ZN2at6native12_GLOBAL__N_127reflection_pad3d_out_kernelIN3c107complexIdEEEEvN5torch10headeronly6detail27GenericPackedTensorAccessorINS8_14TensorAccessorINS3_8ArrayRefIlEEKT_Lm4ENS7_16DefaultPtrTraitsElEENS_6detail16IndexBoundsCheckILm5ElEESE_Lm5ESF_lEENS9_INSA_ISC_SD_Lm4ESF_lEESJ_SD_Lm5ESF_lEElllll, .Lfunc_end64-_ZN2at6native12_GLOBAL__N_127reflection_pad3d_out_kernelIN3c107complexIdEEEEvN5torch10headeronly6detail27GenericPackedTensorAccessorINS8_14TensorAccessorINS3_8ArrayRefIlEEKT_Lm4ENS7_16DefaultPtrTraitsElEENS_6detail16IndexBoundsCheckILm5ElEESE_Lm5ESF_lEENS9_INSA_ISC_SD_Lm4ESF_lEESJ_SD_Lm5ESF_lEElllll
                                        ; -- End function
	.section	.AMDGPU.csdata,"",@progbits
; Kernel info:
; codeLenInByte = 3680
; NumSgprs: 61
; NumVgprs: 17
; NumAgprs: 0
; TotalNumVgprs: 17
; ScratchSize: 0
; MemoryBound: 0
; FloatMode: 240
; IeeeMode: 1
; LDSByteSize: 0 bytes/workgroup (compile time only)
; SGPRBlocks: 7
; VGPRBlocks: 2
; NumSGPRsForWavesPerEU: 61
; NumVGPRsForWavesPerEU: 17
; AccumOffset: 20
; Occupancy: 8
; WaveLimiterHint : 0
; COMPUTE_PGM_RSRC2:SCRATCH_EN: 0
; COMPUTE_PGM_RSRC2:USER_SGPR: 6
; COMPUTE_PGM_RSRC2:TRAP_HANDLER: 0
; COMPUTE_PGM_RSRC2:TGID_X_EN: 1
; COMPUTE_PGM_RSRC2:TGID_Y_EN: 1
; COMPUTE_PGM_RSRC2:TGID_Z_EN: 1
; COMPUTE_PGM_RSRC2:TIDIG_COMP_CNT: 0
; COMPUTE_PGM_RSRC3_GFX90A:ACCUM_OFFSET: 4
; COMPUTE_PGM_RSRC3_GFX90A:TG_SPLIT: 0
	.section	.text._ZN2at6native12_GLOBAL__N_127reflection_pad3d_out_kernelIN3c107complexIfEEEEvN5torch10headeronly6detail27GenericPackedTensorAccessorINS8_14TensorAccessorINS3_8ArrayRefIlEEKT_Lm4ENS7_16DefaultPtrTraitsElEENS_6detail16IndexBoundsCheckILm5ElEESE_Lm5ESF_lEENS9_INSA_ISC_SD_Lm4ESF_lEESJ_SD_Lm5ESF_lEElllll,"axG",@progbits,_ZN2at6native12_GLOBAL__N_127reflection_pad3d_out_kernelIN3c107complexIfEEEEvN5torch10headeronly6detail27GenericPackedTensorAccessorINS8_14TensorAccessorINS3_8ArrayRefIlEEKT_Lm4ENS7_16DefaultPtrTraitsElEENS_6detail16IndexBoundsCheckILm5ElEESE_Lm5ESF_lEENS9_INSA_ISC_SD_Lm4ESF_lEESJ_SD_Lm5ESF_lEElllll,comdat
	.globl	_ZN2at6native12_GLOBAL__N_127reflection_pad3d_out_kernelIN3c107complexIfEEEEvN5torch10headeronly6detail27GenericPackedTensorAccessorINS8_14TensorAccessorINS3_8ArrayRefIlEEKT_Lm4ENS7_16DefaultPtrTraitsElEENS_6detail16IndexBoundsCheckILm5ElEESE_Lm5ESF_lEENS9_INSA_ISC_SD_Lm4ESF_lEESJ_SD_Lm5ESF_lEElllll ; -- Begin function _ZN2at6native12_GLOBAL__N_127reflection_pad3d_out_kernelIN3c107complexIfEEEEvN5torch10headeronly6detail27GenericPackedTensorAccessorINS8_14TensorAccessorINS3_8ArrayRefIlEEKT_Lm4ENS7_16DefaultPtrTraitsElEENS_6detail16IndexBoundsCheckILm5ElEESE_Lm5ESF_lEENS9_INSA_ISC_SD_Lm4ESF_lEESJ_SD_Lm5ESF_lEElllll
	.p2align	8
	.type	_ZN2at6native12_GLOBAL__N_127reflection_pad3d_out_kernelIN3c107complexIfEEEEvN5torch10headeronly6detail27GenericPackedTensorAccessorINS8_14TensorAccessorINS3_8ArrayRefIlEEKT_Lm4ENS7_16DefaultPtrTraitsElEENS_6detail16IndexBoundsCheckILm5ElEESE_Lm5ESF_lEENS9_INSA_ISC_SD_Lm4ESF_lEESJ_SD_Lm5ESF_lEElllll,@function
_ZN2at6native12_GLOBAL__N_127reflection_pad3d_out_kernelIN3c107complexIfEEEEvN5torch10headeronly6detail27GenericPackedTensorAccessorINS8_14TensorAccessorINS3_8ArrayRefIlEEKT_Lm4ENS7_16DefaultPtrTraitsElEENS_6detail16IndexBoundsCheckILm5ElEESE_Lm5ESF_lEENS9_INSA_ISC_SD_Lm4ESF_lEESJ_SD_Lm5ESF_lEElllll: ; @_ZN2at6native12_GLOBAL__N_127reflection_pad3d_out_kernelIN3c107complexIfEEEEvN5torch10headeronly6detail27GenericPackedTensorAccessorINS8_14TensorAccessorINS3_8ArrayRefIlEEKT_Lm4ENS7_16DefaultPtrTraitsElEENS_6detail16IndexBoundsCheckILm5ElEESE_Lm5ESF_lEENS9_INSA_ISC_SD_Lm4ESF_lEESJ_SD_Lm5ESF_lEElllll
; %bb.0:
	s_load_dword s0, s[4:5], 0xe4
	s_load_dwordx4 s[12:15], s[4:5], 0x70
	s_load_dwordx2 s[10:11], s[4:5], 0x80
	v_mov_b32_e32 v2, 0
	v_mov_b32_e32 v1, v2
	s_waitcnt lgkmcnt(0)
	s_and_b32 s0, s0, 0xffff
	v_mov_b32_e32 v3, s6
	v_mad_u64_u32 v[0:1], s[0:1], s0, v3, v[0:1]
	s_mul_i32 s0, s10, s15
	s_mul_hi_u32 s1, s10, s14
	s_add_i32 s9, s1, s0
	s_mul_i32 s0, s11, s14
	s_mul_i32 s6, s10, s14
	s_add_i32 s9, s9, s0
	s_mul_i32 s0, s6, s13
	s_mul_hi_u32 s1, s6, s12
	s_add_i32 s0, s1, s0
	s_mul_i32 s1, s9, s12
	s_add_i32 s1, s0, s1
	s_mul_i32 s0, s6, s12
	v_cmp_gt_i64_e32 vcc, s[0:1], v[0:1]
	s_and_saveexec_b64 s[0:1], vcc
	s_cbranch_execz .LBB65_14
; %bb.1:
	v_or_b32_e32 v3, s11, v1
	v_cmp_ne_u64_e32 vcc, 0, v[2:3]
                                        ; implicit-def: $vgpr4_vgpr5
	s_and_saveexec_b64 s[0:1], vcc
	s_xor_b64 s[2:3], exec, s[0:1]
	s_cbranch_execz .LBB65_3
; %bb.2:
	s_ashr_i32 s12, s11, 31
	s_add_u32 s0, s10, s12
	s_mov_b32 s13, s12
	s_addc_u32 s1, s11, s12
	s_xor_b64 s[16:17], s[0:1], s[12:13]
	v_cvt_f32_u32_e32 v2, s16
	v_cvt_f32_u32_e32 v3, s17
	s_sub_u32 s0, 0, s16
	s_subb_u32 s1, 0, s17
	v_madmk_f32 v2, v3, 0x4f800000, v2
	v_rcp_f32_e32 v2, v2
	v_mul_f32_e32 v2, 0x5f7ffffc, v2
	v_mul_f32_e32 v3, 0x2f800000, v2
	v_trunc_f32_e32 v3, v3
	v_madmk_f32 v2, v3, 0xcf800000, v2
	v_cvt_u32_f32_e32 v3, v3
	v_cvt_u32_f32_e32 v2, v2
	v_mul_lo_u32 v4, s0, v3
	v_mul_hi_u32 v6, s0, v2
	v_mul_lo_u32 v5, s1, v2
	v_add_u32_e32 v4, v6, v4
	v_mul_lo_u32 v7, s0, v2
	v_add_u32_e32 v4, v4, v5
	v_mul_lo_u32 v6, v2, v4
	v_mul_hi_u32 v8, v2, v7
	v_mul_hi_u32 v5, v2, v4
	v_add_co_u32_e32 v6, vcc, v8, v6
	v_addc_co_u32_e32 v5, vcc, 0, v5, vcc
	v_mul_hi_u32 v9, v3, v7
	v_mul_lo_u32 v7, v3, v7
	v_add_co_u32_e32 v6, vcc, v6, v7
	v_mul_hi_u32 v8, v3, v4
	v_addc_co_u32_e32 v5, vcc, v5, v9, vcc
	v_addc_co_u32_e32 v6, vcc, 0, v8, vcc
	v_mul_lo_u32 v4, v3, v4
	v_add_co_u32_e32 v4, vcc, v5, v4
	v_addc_co_u32_e32 v5, vcc, 0, v6, vcc
	v_add_co_u32_e32 v2, vcc, v2, v4
	v_addc_co_u32_e32 v3, vcc, v3, v5, vcc
	v_mul_lo_u32 v4, s0, v3
	v_mul_hi_u32 v5, s0, v2
	v_add_u32_e32 v4, v5, v4
	v_mul_lo_u32 v5, s1, v2
	v_add_u32_e32 v4, v4, v5
	v_mul_lo_u32 v6, s0, v2
	v_mul_hi_u32 v7, v3, v6
	v_mul_lo_u32 v8, v3, v6
	v_mul_lo_u32 v10, v2, v4
	v_mul_hi_u32 v6, v2, v6
	v_mul_hi_u32 v9, v2, v4
	v_add_co_u32_e32 v6, vcc, v6, v10
	v_addc_co_u32_e32 v9, vcc, 0, v9, vcc
	v_add_co_u32_e32 v6, vcc, v6, v8
	v_mul_hi_u32 v5, v3, v4
	v_addc_co_u32_e32 v6, vcc, v9, v7, vcc
	v_addc_co_u32_e32 v5, vcc, 0, v5, vcc
	v_mul_lo_u32 v4, v3, v4
	v_add_co_u32_e32 v4, vcc, v6, v4
	v_addc_co_u32_e32 v5, vcc, 0, v5, vcc
	v_add_co_u32_e32 v4, vcc, v2, v4
	v_addc_co_u32_e32 v5, vcc, v3, v5, vcc
	v_ashrrev_i32_e32 v6, 31, v1
	v_add_co_u32_e32 v2, vcc, v0, v6
	v_addc_co_u32_e32 v3, vcc, v1, v6, vcc
	v_xor_b32_e32 v8, v2, v6
	v_xor_b32_e32 v7, v3, v6
	v_mad_u64_u32 v[2:3], s[0:1], v8, v5, 0
	v_mul_hi_u32 v9, v8, v4
	v_add_co_u32_e32 v9, vcc, v9, v2
	v_addc_co_u32_e32 v10, vcc, 0, v3, vcc
	v_mad_u64_u32 v[2:3], s[0:1], v7, v5, 0
	v_mad_u64_u32 v[4:5], s[0:1], v7, v4, 0
	v_add_co_u32_e32 v4, vcc, v9, v4
	v_addc_co_u32_e32 v4, vcc, v10, v5, vcc
	v_addc_co_u32_e32 v3, vcc, 0, v3, vcc
	v_add_co_u32_e32 v4, vcc, v4, v2
	v_addc_co_u32_e32 v5, vcc, 0, v3, vcc
	v_mul_lo_u32 v9, s17, v4
	v_mul_lo_u32 v10, s16, v5
	v_mad_u64_u32 v[2:3], s[0:1], s16, v4, 0
	v_add3_u32 v3, v3, v10, v9
	v_sub_u32_e32 v9, v7, v3
	v_mov_b32_e32 v10, s17
	v_sub_co_u32_e32 v2, vcc, v8, v2
	v_subb_co_u32_e64 v8, s[0:1], v9, v10, vcc
	v_subrev_co_u32_e64 v9, s[0:1], s16, v2
	v_subbrev_co_u32_e64 v8, s[0:1], 0, v8, s[0:1]
	v_cmp_le_u32_e64 s[0:1], s17, v8
	v_cndmask_b32_e64 v10, 0, -1, s[0:1]
	v_cmp_le_u32_e64 s[0:1], s16, v9
	v_cndmask_b32_e64 v9, 0, -1, s[0:1]
	v_cmp_eq_u32_e64 s[0:1], s17, v8
	v_cndmask_b32_e64 v8, v10, v9, s[0:1]
	v_add_co_u32_e64 v9, s[0:1], 2, v4
	v_subb_co_u32_e32 v3, vcc, v7, v3, vcc
	v_addc_co_u32_e64 v10, s[0:1], 0, v5, s[0:1]
	v_cmp_le_u32_e32 vcc, s17, v3
	v_add_co_u32_e64 v11, s[0:1], 1, v4
	v_cndmask_b32_e64 v7, 0, -1, vcc
	v_cmp_le_u32_e32 vcc, s16, v2
	v_addc_co_u32_e64 v12, s[0:1], 0, v5, s[0:1]
	v_cndmask_b32_e64 v2, 0, -1, vcc
	v_cmp_eq_u32_e32 vcc, s17, v3
	v_cmp_ne_u32_e64 s[0:1], 0, v8
	v_cndmask_b32_e32 v2, v7, v2, vcc
	v_cndmask_b32_e64 v8, v12, v10, s[0:1]
	v_cmp_ne_u32_e32 vcc, 0, v2
	v_cndmask_b32_e64 v3, v11, v9, s[0:1]
	v_cndmask_b32_e32 v2, v5, v8, vcc
	v_cndmask_b32_e32 v3, v4, v3, vcc
	v_xor_b32_e32 v5, s12, v6
	v_xor_b32_e32 v3, v3, v5
	;; [unrolled: 1-line block ×3, first 2 shown]
	v_sub_co_u32_e32 v4, vcc, v3, v5
	v_subb_co_u32_e32 v5, vcc, v2, v5, vcc
.LBB65_3:
	s_andn2_saveexec_b64 s[0:1], s[2:3]
	s_cbranch_execz .LBB65_5
; %bb.4:
	v_cvt_f32_u32_e32 v2, s10
	s_sub_i32 s2, 0, s10
	v_rcp_iflag_f32_e32 v2, v2
	v_mul_f32_e32 v2, 0x4f7ffffe, v2
	v_cvt_u32_f32_e32 v2, v2
	v_mul_lo_u32 v3, s2, v2
	v_mul_hi_u32 v3, v2, v3
	v_add_u32_e32 v2, v2, v3
	v_mul_hi_u32 v2, v0, v2
	v_mul_lo_u32 v3, v2, s10
	v_sub_u32_e32 v3, v0, v3
	v_add_u32_e32 v4, 1, v2
	v_subrev_u32_e32 v5, s10, v3
	v_cmp_le_u32_e32 vcc, s10, v3
	v_cndmask_b32_e32 v3, v3, v5, vcc
	v_cndmask_b32_e32 v2, v2, v4, vcc
	v_add_u32_e32 v4, 1, v2
	v_cmp_le_u32_e32 vcc, s10, v3
	v_cndmask_b32_e32 v4, v2, v4, vcc
	v_mov_b32_e32 v5, 0
.LBB65_5:
	s_or_b64 exec, exec, s[0:1]
	v_or_b32_e32 v3, s15, v5
	v_mov_b32_e32 v2, 0
	v_cmp_ne_u64_e32 vcc, 0, v[2:3]
                                        ; implicit-def: $vgpr2_vgpr3
	s_and_saveexec_b64 s[0:1], vcc
	s_xor_b64 s[12:13], exec, s[0:1]
	s_cbranch_execz .LBB65_7
; %bb.6:
	s_ashr_i32 s0, s15, 31
	s_add_u32 s2, s14, s0
	s_mov_b32 s1, s0
	s_addc_u32 s3, s15, s0
	s_xor_b64 s[16:17], s[2:3], s[0:1]
	v_cvt_f32_u32_e32 v2, s16
	v_cvt_f32_u32_e32 v3, s17
	s_sub_u32 s0, 0, s16
	s_subb_u32 s1, 0, s17
	v_madmk_f32 v2, v3, 0x4f800000, v2
	v_rcp_f32_e32 v2, v2
	v_mul_f32_e32 v2, 0x5f7ffffc, v2
	v_mul_f32_e32 v3, 0x2f800000, v2
	v_trunc_f32_e32 v3, v3
	v_madmk_f32 v2, v3, 0xcf800000, v2
	v_cvt_u32_f32_e32 v3, v3
	v_cvt_u32_f32_e32 v2, v2
	v_mul_lo_u32 v6, s0, v3
	v_mul_hi_u32 v8, s0, v2
	v_mul_lo_u32 v7, s1, v2
	v_add_u32_e32 v6, v8, v6
	v_mul_lo_u32 v9, s0, v2
	v_add_u32_e32 v6, v6, v7
	v_mul_lo_u32 v8, v2, v6
	v_mul_hi_u32 v10, v2, v9
	v_mul_hi_u32 v7, v2, v6
	v_add_co_u32_e32 v8, vcc, v10, v8
	v_addc_co_u32_e32 v7, vcc, 0, v7, vcc
	v_mul_hi_u32 v11, v3, v9
	v_mul_lo_u32 v9, v3, v9
	v_add_co_u32_e32 v8, vcc, v8, v9
	v_mul_hi_u32 v10, v3, v6
	v_addc_co_u32_e32 v7, vcc, v7, v11, vcc
	v_addc_co_u32_e32 v8, vcc, 0, v10, vcc
	v_mul_lo_u32 v6, v3, v6
	v_add_co_u32_e32 v6, vcc, v7, v6
	v_addc_co_u32_e32 v7, vcc, 0, v8, vcc
	v_add_co_u32_e32 v2, vcc, v2, v6
	v_addc_co_u32_e32 v3, vcc, v3, v7, vcc
	v_mul_lo_u32 v6, s0, v3
	v_mul_hi_u32 v7, s0, v2
	v_add_u32_e32 v6, v7, v6
	v_mul_lo_u32 v7, s1, v2
	v_add_u32_e32 v6, v6, v7
	v_mul_lo_u32 v8, s0, v2
	v_mul_hi_u32 v9, v3, v8
	v_mul_lo_u32 v10, v3, v8
	v_mul_lo_u32 v12, v2, v6
	v_mul_hi_u32 v8, v2, v8
	v_mul_hi_u32 v11, v2, v6
	v_add_co_u32_e32 v8, vcc, v8, v12
	v_addc_co_u32_e32 v11, vcc, 0, v11, vcc
	v_add_co_u32_e32 v8, vcc, v8, v10
	v_mul_hi_u32 v7, v3, v6
	v_addc_co_u32_e32 v8, vcc, v11, v9, vcc
	v_addc_co_u32_e32 v7, vcc, 0, v7, vcc
	v_mul_lo_u32 v6, v3, v6
	v_add_co_u32_e32 v6, vcc, v8, v6
	v_addc_co_u32_e32 v7, vcc, 0, v7, vcc
	v_add_co_u32_e32 v6, vcc, v2, v6
	v_addc_co_u32_e32 v7, vcc, v3, v7, vcc
	v_ashrrev_i32_e32 v8, 31, v5
	v_add_co_u32_e32 v2, vcc, v4, v8
	v_addc_co_u32_e32 v3, vcc, v5, v8, vcc
	v_xor_b32_e32 v10, v2, v8
	v_xor_b32_e32 v9, v3, v8
	v_mad_u64_u32 v[2:3], s[0:1], v10, v7, 0
	v_mul_hi_u32 v11, v10, v6
	v_add_co_u32_e32 v11, vcc, v11, v2
	v_addc_co_u32_e32 v12, vcc, 0, v3, vcc
	v_mad_u64_u32 v[2:3], s[0:1], v9, v7, 0
	v_mad_u64_u32 v[6:7], s[0:1], v9, v6, 0
	v_add_co_u32_e32 v6, vcc, v11, v6
	v_addc_co_u32_e32 v6, vcc, v12, v7, vcc
	v_addc_co_u32_e32 v3, vcc, 0, v3, vcc
	v_add_co_u32_e32 v2, vcc, v6, v2
	v_addc_co_u32_e32 v3, vcc, 0, v3, vcc
	v_mul_lo_u32 v6, s17, v2
	v_mul_lo_u32 v7, s16, v3
	v_mad_u64_u32 v[2:3], s[0:1], s16, v2, 0
	v_add3_u32 v3, v3, v7, v6
	v_sub_u32_e32 v6, v9, v3
	v_mov_b32_e32 v7, s17
	v_sub_co_u32_e32 v2, vcc, v10, v2
	v_subb_co_u32_e64 v6, s[0:1], v6, v7, vcc
	v_subrev_co_u32_e64 v10, s[0:1], s16, v2
	v_subbrev_co_u32_e64 v11, s[2:3], 0, v6, s[0:1]
	v_cmp_le_u32_e64 s[2:3], s17, v11
	v_cndmask_b32_e64 v12, 0, -1, s[2:3]
	v_cmp_le_u32_e64 s[2:3], s16, v10
	v_subb_co_u32_e64 v6, s[0:1], v6, v7, s[0:1]
	v_cndmask_b32_e64 v13, 0, -1, s[2:3]
	v_cmp_eq_u32_e64 s[2:3], s17, v11
	v_subrev_co_u32_e64 v7, s[0:1], s16, v10
	v_subb_co_u32_e32 v3, vcc, v9, v3, vcc
	v_cndmask_b32_e64 v12, v12, v13, s[2:3]
	v_subbrev_co_u32_e64 v6, s[0:1], 0, v6, s[0:1]
	v_cmp_le_u32_e32 vcc, s17, v3
	v_cmp_ne_u32_e64 s[0:1], 0, v12
	v_cndmask_b32_e64 v9, 0, -1, vcc
	v_cmp_le_u32_e32 vcc, s16, v2
	v_cndmask_b32_e64 v6, v11, v6, s[0:1]
	v_cndmask_b32_e64 v11, 0, -1, vcc
	v_cmp_eq_u32_e32 vcc, s17, v3
	v_cndmask_b32_e32 v9, v9, v11, vcc
	v_cmp_ne_u32_e32 vcc, 0, v9
	v_cndmask_b32_e32 v3, v3, v6, vcc
	v_cndmask_b32_e64 v6, v10, v7, s[0:1]
	v_cndmask_b32_e32 v2, v2, v6, vcc
	v_xor_b32_e32 v2, v2, v8
	v_xor_b32_e32 v3, v3, v8
	v_sub_co_u32_e32 v2, vcc, v2, v8
	v_subb_co_u32_e32 v3, vcc, v3, v8, vcc
.LBB65_7:
	s_or_saveexec_b64 s[0:1], s[12:13]
	s_load_dwordx2 s[2:3], s[4:5], 0xa8
	s_load_dwordx8 s[36:43], s[4:5], 0x88
	s_xor_b64 exec, exec, s[0:1]
	s_cbranch_execz .LBB65_9
; %bb.8:
	v_cvt_f32_u32_e32 v2, s14
	s_sub_i32 s12, 0, s14
	v_rcp_iflag_f32_e32 v2, v2
	v_mul_f32_e32 v2, 0x4f7ffffe, v2
	v_cvt_u32_f32_e32 v2, v2
	v_mul_lo_u32 v3, s12, v2
	v_mul_hi_u32 v3, v2, v3
	v_add_u32_e32 v2, v2, v3
	v_mul_hi_u32 v2, v4, v2
	v_mul_lo_u32 v2, v2, s14
	v_sub_u32_e32 v2, v4, v2
	v_subrev_u32_e32 v3, s14, v2
	v_cmp_le_u32_e32 vcc, s14, v2
	v_cndmask_b32_e32 v2, v2, v3, vcc
	v_subrev_u32_e32 v3, s14, v2
	v_cmp_le_u32_e32 vcc, s14, v2
	v_cndmask_b32_e32 v2, v2, v3, vcc
	v_mov_b32_e32 v3, 0
.LBB65_9:
	s_or_b64 exec, exec, s[0:1]
	s_load_dwordx2 s[28:29], s[4:5], 0x58
	s_load_dwordx2 s[30:31], s[4:5], 0x0
	v_or_b32_e32 v7, s9, v1
	v_mov_b32_e32 v6, 0
	v_cmp_ne_u64_e32 vcc, 0, v[6:7]
                                        ; implicit-def: $vgpr6_vgpr7
	s_and_saveexec_b64 s[0:1], vcc
	s_xor_b64 s[12:13], exec, s[0:1]
	s_cbranch_execz .LBB65_11
; %bb.10:
	s_ashr_i32 s14, s9, 31
	s_add_u32 s0, s6, s14
	s_mov_b32 s15, s14
	s_addc_u32 s1, s9, s14
	s_xor_b64 s[16:17], s[0:1], s[14:15]
	v_cvt_f32_u32_e32 v6, s16
	v_cvt_f32_u32_e32 v7, s17
	s_sub_u32 s0, 0, s16
	s_subb_u32 s1, 0, s17
	v_madmk_f32 v6, v7, 0x4f800000, v6
	v_rcp_f32_e32 v6, v6
	v_mul_f32_e32 v6, 0x5f7ffffc, v6
	v_mul_f32_e32 v7, 0x2f800000, v6
	v_trunc_f32_e32 v7, v7
	v_madmk_f32 v6, v7, 0xcf800000, v6
	v_cvt_u32_f32_e32 v7, v7
	v_cvt_u32_f32_e32 v6, v6
	v_mul_lo_u32 v8, s0, v7
	v_mul_hi_u32 v10, s0, v6
	v_mul_lo_u32 v9, s1, v6
	v_add_u32_e32 v8, v10, v8
	v_mul_lo_u32 v11, s0, v6
	v_add_u32_e32 v8, v8, v9
	v_mul_lo_u32 v10, v6, v8
	v_mul_hi_u32 v12, v6, v11
	v_mul_hi_u32 v9, v6, v8
	v_add_co_u32_e32 v10, vcc, v12, v10
	v_addc_co_u32_e32 v9, vcc, 0, v9, vcc
	v_mul_hi_u32 v13, v7, v11
	v_mul_lo_u32 v11, v7, v11
	v_add_co_u32_e32 v10, vcc, v10, v11
	v_mul_hi_u32 v12, v7, v8
	v_addc_co_u32_e32 v9, vcc, v9, v13, vcc
	v_addc_co_u32_e32 v10, vcc, 0, v12, vcc
	v_mul_lo_u32 v8, v7, v8
	v_add_co_u32_e32 v8, vcc, v9, v8
	v_addc_co_u32_e32 v9, vcc, 0, v10, vcc
	v_add_co_u32_e32 v6, vcc, v6, v8
	v_addc_co_u32_e32 v7, vcc, v7, v9, vcc
	v_mul_lo_u32 v8, s0, v7
	v_mul_hi_u32 v9, s0, v6
	v_add_u32_e32 v8, v9, v8
	v_mul_lo_u32 v9, s1, v6
	v_add_u32_e32 v8, v8, v9
	v_mul_lo_u32 v10, s0, v6
	v_mul_hi_u32 v11, v7, v10
	v_mul_lo_u32 v12, v7, v10
	v_mul_lo_u32 v14, v6, v8
	v_mul_hi_u32 v10, v6, v10
	v_mul_hi_u32 v13, v6, v8
	v_add_co_u32_e32 v10, vcc, v10, v14
	v_addc_co_u32_e32 v13, vcc, 0, v13, vcc
	v_add_co_u32_e32 v10, vcc, v10, v12
	v_mul_hi_u32 v9, v7, v8
	v_addc_co_u32_e32 v10, vcc, v13, v11, vcc
	v_addc_co_u32_e32 v9, vcc, 0, v9, vcc
	v_mul_lo_u32 v8, v7, v8
	v_add_co_u32_e32 v8, vcc, v10, v8
	v_addc_co_u32_e32 v9, vcc, 0, v9, vcc
	v_add_co_u32_e32 v8, vcc, v6, v8
	v_addc_co_u32_e32 v9, vcc, v7, v9, vcc
	v_ashrrev_i32_e32 v10, 31, v1
	v_add_co_u32_e32 v6, vcc, v0, v10
	v_addc_co_u32_e32 v7, vcc, v1, v10, vcc
	v_xor_b32_e32 v12, v6, v10
	v_xor_b32_e32 v11, v7, v10
	v_mad_u64_u32 v[6:7], s[0:1], v12, v9, 0
	v_mul_hi_u32 v13, v12, v8
	v_add_co_u32_e32 v13, vcc, v13, v6
	v_addc_co_u32_e32 v14, vcc, 0, v7, vcc
	v_mad_u64_u32 v[6:7], s[0:1], v11, v9, 0
	v_mad_u64_u32 v[8:9], s[0:1], v11, v8, 0
	v_add_co_u32_e32 v8, vcc, v13, v8
	v_addc_co_u32_e32 v8, vcc, v14, v9, vcc
	v_addc_co_u32_e32 v7, vcc, 0, v7, vcc
	v_add_co_u32_e32 v8, vcc, v8, v6
	v_addc_co_u32_e32 v9, vcc, 0, v7, vcc
	v_mul_lo_u32 v13, s17, v8
	v_mul_lo_u32 v14, s16, v9
	v_mad_u64_u32 v[6:7], s[0:1], s16, v8, 0
	v_add3_u32 v7, v7, v14, v13
	v_sub_u32_e32 v13, v11, v7
	v_mov_b32_e32 v14, s17
	v_sub_co_u32_e32 v6, vcc, v12, v6
	v_subb_co_u32_e64 v12, s[0:1], v13, v14, vcc
	v_subrev_co_u32_e64 v13, s[0:1], s16, v6
	v_subbrev_co_u32_e64 v12, s[0:1], 0, v12, s[0:1]
	v_cmp_le_u32_e64 s[0:1], s17, v12
	v_cndmask_b32_e64 v14, 0, -1, s[0:1]
	v_cmp_le_u32_e64 s[0:1], s16, v13
	v_cndmask_b32_e64 v13, 0, -1, s[0:1]
	v_cmp_eq_u32_e64 s[0:1], s17, v12
	v_cndmask_b32_e64 v12, v14, v13, s[0:1]
	v_add_co_u32_e64 v13, s[0:1], 2, v8
	v_subb_co_u32_e32 v7, vcc, v11, v7, vcc
	v_addc_co_u32_e64 v14, s[0:1], 0, v9, s[0:1]
	v_cmp_le_u32_e32 vcc, s17, v7
	v_add_co_u32_e64 v15, s[0:1], 1, v8
	v_cndmask_b32_e64 v11, 0, -1, vcc
	v_cmp_le_u32_e32 vcc, s16, v6
	v_addc_co_u32_e64 v16, s[0:1], 0, v9, s[0:1]
	v_cndmask_b32_e64 v6, 0, -1, vcc
	v_cmp_eq_u32_e32 vcc, s17, v7
	v_cmp_ne_u32_e64 s[0:1], 0, v12
	v_cndmask_b32_e32 v6, v11, v6, vcc
	v_cndmask_b32_e64 v12, v16, v14, s[0:1]
	v_cmp_ne_u32_e32 vcc, 0, v6
	v_cndmask_b32_e64 v7, v15, v13, s[0:1]
	v_cndmask_b32_e32 v6, v9, v12, vcc
	v_cndmask_b32_e32 v7, v8, v7, vcc
	v_xor_b32_e32 v8, s14, v10
	v_xor_b32_e32 v9, v6, v8
	;; [unrolled: 1-line block ×3, first 2 shown]
	v_sub_co_u32_e32 v6, vcc, v6, v8
	v_subb_co_u32_e32 v7, vcc, v9, v8, vcc
.LBB65_11:
	s_or_saveexec_b64 s[0:1], s[12:13]
	s_load_dwordx16 s[12:27], s[4:5], 0x18
	s_xor_b64 exec, exec, s[0:1]
	s_cbranch_execz .LBB65_13
; %bb.12:
	v_cvt_f32_u32_e32 v6, s6
	s_sub_i32 s9, 0, s6
	v_rcp_iflag_f32_e32 v6, v6
	v_mul_f32_e32 v6, 0x4f7ffffe, v6
	v_cvt_u32_f32_e32 v6, v6
	v_mul_lo_u32 v7, s9, v6
	v_mul_hi_u32 v7, v6, v7
	v_add_u32_e32 v6, v6, v7
	v_mul_hi_u32 v6, v0, v6
	v_mul_lo_u32 v7, v6, s6
	v_sub_u32_e32 v7, v0, v7
	v_add_u32_e32 v8, 1, v6
	v_subrev_u32_e32 v9, s6, v7
	v_cmp_le_u32_e32 vcc, s6, v7
	v_cndmask_b32_e32 v7, v7, v9, vcc
	v_cndmask_b32_e32 v6, v6, v8, vcc
	v_add_u32_e32 v8, 1, v6
	v_cmp_le_u32_e32 vcc, s6, v7
	v_cndmask_b32_e32 v6, v6, v8, vcc
	v_mov_b32_e32 v7, 0
.LBB65_13:
	s_or_b64 exec, exec, s[0:1]
	s_load_dwordx8 s[44:51], s[4:5], 0xb0
	v_mul_lo_u32 v8, v5, s10
	v_mul_lo_u32 v9, v4, s11
	v_mad_u64_u32 v[4:5], s[0:1], v4, s10, 0
	s_load_dwordx2 s[0:1], s[4:5], 0xd0
	s_waitcnt lgkmcnt(0)
	s_sub_u32 s4, 0, s44
	s_subb_u32 s5, 0, s45
	s_sub_u32 s10, 0, s46
	s_subb_u32 s11, 0, s47
	;; [unrolled: 2-line block ×3, first 2 shown]
	v_cmp_gt_i64_e64 s[52:53], s[4:5], 0
	s_and_b64 s[52:53], s[52:53], exec
	s_cselect_b32 s6, s5, 0
	s_cselect_b32 s9, s4, 0
	v_cmp_gt_i64_e64 s[4:5], s[44:45], 0
	s_and_b64 s[4:5], s[4:5], exec
	v_cmp_gt_i64_e64 s[4:5], s[10:11], 0
	s_cselect_b32 s53, s45, 0
	s_cselect_b32 s52, s44, 0
	s_and_b64 s[4:5], s[4:5], exec
	v_add3_u32 v5, v5, v9, v8
	v_sub_co_u32_e32 v0, vcc, v0, v4
	v_cmp_gt_i64_e64 s[4:5], s[46:47], 0
	v_subb_co_u32_e32 v1, vcc, v1, v5, vcc
	s_cselect_b32 s33, s11, 0
	s_cselect_b32 s54, s10, 0
	s_and_b64 s[4:5], s[4:5], exec
	v_cmp_gt_i64_e64 s[4:5], s[34:35], 0
	v_mov_b32_e32 v5, s45
	v_subrev_co_u32_e32 v4, vcc, s44, v0
	s_cselect_b32 s11, s47, 0
	s_cselect_b32 s10, s46, 0
	s_and_b64 s[4:5], s[4:5], exec
	v_subb_co_u32_e32 v5, vcc, v1, v5, vcc
	v_cmp_gt_i64_e64 s[4:5], s[48:49], 0
	v_ashrrev_i32_e32 v8, 31, v5
	s_cselect_b32 s55, s35, 0
	s_cselect_b32 s56, s34, 0
	s_and_b64 s[4:5], s[4:5], exec
	v_xor_b32_e32 v4, v4, v8
	s_cselect_b32 s5, s49, 0
	s_cselect_b32 s4, s48, 0
	v_xor_b32_e32 v5, v5, v8
	v_sub_co_u32_e32 v9, vcc, v4, v8
	s_add_u32 s34, s16, s44
	v_subb_co_u32_e32 v8, vcc, v5, v8, vcc
	s_addc_u32 s35, s17, s45
	v_mov_b32_e32 v5, s35
	v_subrev_co_u32_e32 v4, vcc, s34, v0
	v_subb_co_u32_e32 v5, vcc, v1, v5, vcc
	v_add_co_u32_e32 v4, vcc, 1, v4
	v_addc_co_u32_e32 v5, vcc, 0, v5, vcc
	s_lshl_b64 s[34:35], s[44:45], 1
	s_not_b64 s[44:45], s[52:53]
	v_ashrrev_i32_e32 v10, 31, v5
	s_add_u32 s34, s34, s44
	v_xor_b32_e32 v4, v4, v10
	s_addc_u32 s35, s35, s45
	v_xor_b32_e32 v5, v5, v10
	v_sub_co_u32_e32 v4, vcc, v4, v10
	s_add_u32 s9, s34, s9
	v_subb_co_u32_e32 v5, vcc, v5, v10, vcc
	s_addc_u32 s6, s35, s6
	s_add_u32 s9, s9, s16
	v_add_co_u32_e32 v4, vcc, v0, v4
	s_addc_u32 s6, s6, s17
	v_addc_co_u32_e32 v5, vcc, v1, v5, vcc
	v_mov_b32_e32 v10, s6
	v_sub_co_u32_e32 v4, vcc, s9, v4
	v_subb_co_u32_e32 v5, vcc, v10, v5, vcc
	v_add_co_u32_e32 v9, vcc, v4, v9
	v_addc_co_u32_e32 v8, vcc, v5, v8, vcc
	v_mov_b32_e32 v4, s47
	v_subrev_co_u32_e32 v5, vcc, s46, v2
	v_subb_co_u32_e32 v4, vcc, v3, v4, vcc
	v_ashrrev_i32_e32 v10, 31, v4
	v_xor_b32_e32 v5, v5, v10
	v_xor_b32_e32 v4, v4, v10
	v_sub_co_u32_e32 v5, vcc, v5, v10
	s_add_u32 s6, s14, s46
	v_subb_co_u32_e32 v4, vcc, v4, v10, vcc
	s_addc_u32 s9, s15, s47
	v_mov_b32_e32 v10, s9
	v_subrev_co_u32_e32 v11, vcc, s6, v2
	v_subb_co_u32_e32 v10, vcc, v3, v10, vcc
	v_add_co_u32_e32 v11, vcc, 1, v11
	v_addc_co_u32_e32 v10, vcc, 0, v10, vcc
	s_lshl_b64 s[16:17], s[46:47], 1
	s_not_b64 s[10:11], s[10:11]
	v_ashrrev_i32_e32 v12, 31, v10
	s_add_u32 s6, s16, s10
	v_xor_b32_e32 v11, v11, v12
	s_addc_u32 s9, s17, s11
	v_xor_b32_e32 v10, v10, v12
	v_sub_co_u32_e32 v11, vcc, v11, v12
	s_add_u32 s6, s6, s54
	v_subb_co_u32_e32 v10, vcc, v10, v12, vcc
	s_addc_u32 s9, s9, s33
	s_add_u32 s6, s6, s14
	v_add_co_u32_e32 v11, vcc, v2, v11
	s_addc_u32 s9, s9, s15
	v_addc_co_u32_e32 v10, vcc, v3, v10, vcc
	v_mov_b32_e32 v12, s9
	v_sub_co_u32_e32 v11, vcc, s6, v11
	v_subb_co_u32_e32 v10, vcc, v12, v10, vcc
	v_add_co_u32_e32 v11, vcc, v11, v5
	v_addc_co_u32_e32 v10, vcc, v10, v4, vcc
	v_mov_b32_e32 v4, s49
	v_subrev_co_u32_e32 v5, vcc, s48, v6
	v_subb_co_u32_e32 v4, vcc, v7, v4, vcc
	v_ashrrev_i32_e32 v12, 31, v4
	v_xor_b32_e32 v5, v5, v12
	v_xor_b32_e32 v4, v4, v12
	v_sub_co_u32_e32 v5, vcc, v5, v12
	s_add_u32 s6, s12, s48
	v_subb_co_u32_e32 v4, vcc, v4, v12, vcc
	s_addc_u32 s9, s13, s49
	v_mov_b32_e32 v12, s9
	v_subrev_co_u32_e32 v13, vcc, s6, v6
	v_subb_co_u32_e32 v12, vcc, v7, v12, vcc
	v_add_co_u32_e32 v13, vcc, 1, v13
	v_addc_co_u32_e32 v12, vcc, 0, v12, vcc
	s_lshl_b64 s[10:11], s[48:49], 1
	s_not_b64 s[4:5], s[4:5]
	v_ashrrev_i32_e32 v14, 31, v12
	s_add_u32 s4, s10, s4
	v_xor_b32_e32 v13, v13, v14
	s_addc_u32 s5, s11, s5
	v_xor_b32_e32 v12, v12, v14
	v_sub_co_u32_e32 v13, vcc, v13, v14
	s_add_u32 s4, s4, s56
	v_subb_co_u32_e32 v12, vcc, v12, v14, vcc
	s_addc_u32 s5, s5, s55
	s_add_u32 s4, s4, s12
	v_add_co_u32_e32 v13, vcc, v6, v13
	s_addc_u32 s5, s5, s13
	v_addc_co_u32_e32 v12, vcc, v7, v12, vcc
	v_sub_co_u32_e32 v13, vcc, s4, v13
	s_add_u32 s4, s7, s50
	v_mov_b32_e32 v14, s5
	s_addc_u32 s5, 0, s51
	s_add_u32 s6, s8, s0
	s_addc_u32 s7, 0, s1
	s_mul_i32 s0, s18, s7
	s_mul_hi_u32 s1, s18, s6
	s_add_i32 s0, s1, s0
	s_mul_i32 s1, s19, s6
	s_add_i32 s1, s0, s1
	s_mul_i32 s0, s18, s6
	s_lshl_b64 s[0:1], s[0:1], 3
	s_add_u32 s8, s30, s0
	s_addc_u32 s9, s31, s1
	s_mul_i32 s0, s20, s5
	s_mul_hi_u32 s1, s20, s4
	s_add_i32 s0, s1, s0
	s_mul_i32 s1, s21, s4
	v_subb_co_u32_e32 v12, vcc, v14, v12, vcc
	s_add_i32 s1, s0, s1
	s_mul_i32 s0, s20, s4
	v_add_co_u32_e32 v5, vcc, v13, v5
	s_lshl_b64 s[0:1], s[0:1], 3
	v_addc_co_u32_e32 v4, vcc, v12, v4, vcc
	s_add_u32 s8, s8, s0
	s_addc_u32 s9, s9, s1
	v_mul_lo_u32 v12, v4, s22
	v_mul_lo_u32 v13, v5, s23
	v_mad_u64_u32 v[4:5], s[0:1], v5, s22, 0
	v_add3_u32 v5, v5, v13, v12
	v_lshlrev_b64 v[4:5], 3, v[4:5]
	v_mov_b32_e32 v12, s9
	v_add_co_u32_e32 v13, vcc, s8, v4
	v_addc_co_u32_e32 v12, vcc, v12, v5, vcc
	v_mul_lo_u32 v10, v10, s24
	v_mul_lo_u32 v14, v11, s25
	v_mad_u64_u32 v[4:5], s[0:1], v11, s24, 0
	v_add3_u32 v5, v5, v14, v10
	v_lshlrev_b64 v[4:5], 3, v[4:5]
	v_add_co_u32_e32 v10, vcc, v13, v4
	v_addc_co_u32_e32 v11, vcc, v12, v5, vcc
	v_mul_lo_u32 v8, v8, s26
	v_mul_lo_u32 v12, v9, s27
	v_mad_u64_u32 v[4:5], s[0:1], v9, s26, 0
	v_add3_u32 v5, v5, v12, v8
	v_lshlrev_b64 v[4:5], 3, v[4:5]
	v_add_co_u32_e32 v4, vcc, v10, v4
	v_addc_co_u32_e32 v5, vcc, v11, v5, vcc
	global_load_dwordx2 v[4:5], v[4:5], off
	s_mul_i32 s0, s36, s7
	s_mul_hi_u32 s1, s36, s6
	s_add_i32 s0, s1, s0
	s_mul_i32 s1, s37, s6
	s_add_i32 s1, s0, s1
	s_mul_i32 s0, s36, s6
	s_lshl_b64 s[0:1], s[0:1], 3
	s_add_u32 s6, s28, s0
	s_addc_u32 s7, s29, s1
	s_mul_i32 s0, s38, s5
	s_mul_hi_u32 s1, s38, s4
	s_add_i32 s0, s1, s0
	s_mul_i32 s1, s39, s4
	s_add_i32 s1, s0, s1
	s_mul_i32 s0, s38, s4
	s_lshl_b64 s[0:1], s[0:1], 3
	s_add_u32 s4, s6, s0
	s_addc_u32 s5, s7, s1
	v_mul_lo_u32 v8, v7, s40
	v_mul_lo_u32 v9, v6, s41
	v_mad_u64_u32 v[6:7], s[0:1], v6, s40, 0
	v_add3_u32 v7, v7, v9, v8
	v_lshlrev_b64 v[6:7], 3, v[6:7]
	v_mov_b32_e32 v8, s5
	v_add_co_u32_e32 v6, vcc, s4, v6
	v_addc_co_u32_e32 v7, vcc, v8, v7, vcc
	v_mul_lo_u32 v8, v3, s42
	v_mul_lo_u32 v9, v2, s43
	v_mad_u64_u32 v[2:3], s[0:1], v2, s42, 0
	v_add3_u32 v3, v3, v9, v8
	v_lshlrev_b64 v[2:3], 3, v[2:3]
	v_add_co_u32_e32 v2, vcc, v6, v2
	v_addc_co_u32_e32 v3, vcc, v7, v3, vcc
	v_mul_lo_u32 v6, v1, s2
	v_mul_lo_u32 v7, v0, s3
	v_mad_u64_u32 v[0:1], s[0:1], v0, s2, 0
	v_add3_u32 v1, v1, v7, v6
	v_lshlrev_b64 v[0:1], 3, v[0:1]
	v_add_co_u32_e32 v0, vcc, v2, v0
	v_addc_co_u32_e32 v1, vcc, v3, v1, vcc
	s_waitcnt vmcnt(0)
	global_store_dwordx2 v[0:1], v[4:5], off
.LBB65_14:
	s_endpgm
	.section	.rodata,"a",@progbits
	.p2align	6, 0x0
	.amdhsa_kernel _ZN2at6native12_GLOBAL__N_127reflection_pad3d_out_kernelIN3c107complexIfEEEEvN5torch10headeronly6detail27GenericPackedTensorAccessorINS8_14TensorAccessorINS3_8ArrayRefIlEEKT_Lm4ENS7_16DefaultPtrTraitsElEENS_6detail16IndexBoundsCheckILm5ElEESE_Lm5ESF_lEENS9_INSA_ISC_SD_Lm4ESF_lEESJ_SD_Lm5ESF_lEElllll
		.amdhsa_group_segment_fixed_size 0
		.amdhsa_private_segment_fixed_size 0
		.amdhsa_kernarg_size 472
		.amdhsa_user_sgpr_count 6
		.amdhsa_user_sgpr_private_segment_buffer 1
		.amdhsa_user_sgpr_dispatch_ptr 0
		.amdhsa_user_sgpr_queue_ptr 0
		.amdhsa_user_sgpr_kernarg_segment_ptr 1
		.amdhsa_user_sgpr_dispatch_id 0
		.amdhsa_user_sgpr_flat_scratch_init 0
		.amdhsa_user_sgpr_kernarg_preload_length 0
		.amdhsa_user_sgpr_kernarg_preload_offset 0
		.amdhsa_user_sgpr_private_segment_size 0
		.amdhsa_uses_dynamic_stack 0
		.amdhsa_system_sgpr_private_segment_wavefront_offset 0
		.amdhsa_system_sgpr_workgroup_id_x 1
		.amdhsa_system_sgpr_workgroup_id_y 1
		.amdhsa_system_sgpr_workgroup_id_z 1
		.amdhsa_system_sgpr_workgroup_info 0
		.amdhsa_system_vgpr_workitem_id 0
		.amdhsa_next_free_vgpr 17
		.amdhsa_next_free_sgpr 57
		.amdhsa_accum_offset 20
		.amdhsa_reserve_vcc 1
		.amdhsa_reserve_flat_scratch 0
		.amdhsa_float_round_mode_32 0
		.amdhsa_float_round_mode_16_64 0
		.amdhsa_float_denorm_mode_32 3
		.amdhsa_float_denorm_mode_16_64 3
		.amdhsa_dx10_clamp 1
		.amdhsa_ieee_mode 1
		.amdhsa_fp16_overflow 0
		.amdhsa_tg_split 0
		.amdhsa_exception_fp_ieee_invalid_op 0
		.amdhsa_exception_fp_denorm_src 0
		.amdhsa_exception_fp_ieee_div_zero 0
		.amdhsa_exception_fp_ieee_overflow 0
		.amdhsa_exception_fp_ieee_underflow 0
		.amdhsa_exception_fp_ieee_inexact 0
		.amdhsa_exception_int_div_zero 0
	.end_amdhsa_kernel
	.section	.text._ZN2at6native12_GLOBAL__N_127reflection_pad3d_out_kernelIN3c107complexIfEEEEvN5torch10headeronly6detail27GenericPackedTensorAccessorINS8_14TensorAccessorINS3_8ArrayRefIlEEKT_Lm4ENS7_16DefaultPtrTraitsElEENS_6detail16IndexBoundsCheckILm5ElEESE_Lm5ESF_lEENS9_INSA_ISC_SD_Lm4ESF_lEESJ_SD_Lm5ESF_lEElllll,"axG",@progbits,_ZN2at6native12_GLOBAL__N_127reflection_pad3d_out_kernelIN3c107complexIfEEEEvN5torch10headeronly6detail27GenericPackedTensorAccessorINS8_14TensorAccessorINS3_8ArrayRefIlEEKT_Lm4ENS7_16DefaultPtrTraitsElEENS_6detail16IndexBoundsCheckILm5ElEESE_Lm5ESF_lEENS9_INSA_ISC_SD_Lm4ESF_lEESJ_SD_Lm5ESF_lEElllll,comdat
.Lfunc_end65:
	.size	_ZN2at6native12_GLOBAL__N_127reflection_pad3d_out_kernelIN3c107complexIfEEEEvN5torch10headeronly6detail27GenericPackedTensorAccessorINS8_14TensorAccessorINS3_8ArrayRefIlEEKT_Lm4ENS7_16DefaultPtrTraitsElEENS_6detail16IndexBoundsCheckILm5ElEESE_Lm5ESF_lEENS9_INSA_ISC_SD_Lm4ESF_lEESJ_SD_Lm5ESF_lEElllll, .Lfunc_end65-_ZN2at6native12_GLOBAL__N_127reflection_pad3d_out_kernelIN3c107complexIfEEEEvN5torch10headeronly6detail27GenericPackedTensorAccessorINS8_14TensorAccessorINS3_8ArrayRefIlEEKT_Lm4ENS7_16DefaultPtrTraitsElEENS_6detail16IndexBoundsCheckILm5ElEESE_Lm5ESF_lEENS9_INSA_ISC_SD_Lm4ESF_lEESJ_SD_Lm5ESF_lEElllll
                                        ; -- End function
	.section	.AMDGPU.csdata,"",@progbits
; Kernel info:
; codeLenInByte = 3680
; NumSgprs: 61
; NumVgprs: 17
; NumAgprs: 0
; TotalNumVgprs: 17
; ScratchSize: 0
; MemoryBound: 0
; FloatMode: 240
; IeeeMode: 1
; LDSByteSize: 0 bytes/workgroup (compile time only)
; SGPRBlocks: 7
; VGPRBlocks: 2
; NumSGPRsForWavesPerEU: 61
; NumVGPRsForWavesPerEU: 17
; AccumOffset: 20
; Occupancy: 8
; WaveLimiterHint : 0
; COMPUTE_PGM_RSRC2:SCRATCH_EN: 0
; COMPUTE_PGM_RSRC2:USER_SGPR: 6
; COMPUTE_PGM_RSRC2:TRAP_HANDLER: 0
; COMPUTE_PGM_RSRC2:TGID_X_EN: 1
; COMPUTE_PGM_RSRC2:TGID_Y_EN: 1
; COMPUTE_PGM_RSRC2:TGID_Z_EN: 1
; COMPUTE_PGM_RSRC2:TIDIG_COMP_CNT: 0
; COMPUTE_PGM_RSRC3_GFX90A:ACCUM_OFFSET: 4
; COMPUTE_PGM_RSRC3_GFX90A:TG_SPLIT: 0
	.section	.text._ZN2at6native12_GLOBAL__N_127reflection_pad3d_out_kernelIN3c104HalfEEEvN5torch10headeronly6detail27GenericPackedTensorAccessorINS7_14TensorAccessorINS3_8ArrayRefIlEEKT_Lm4ENS6_16DefaultPtrTraitsElEENS_6detail16IndexBoundsCheckILm5ElEESD_Lm5ESE_lEENS8_INS9_ISB_SC_Lm4ESE_lEESI_SC_Lm5ESE_lEElllll,"axG",@progbits,_ZN2at6native12_GLOBAL__N_127reflection_pad3d_out_kernelIN3c104HalfEEEvN5torch10headeronly6detail27GenericPackedTensorAccessorINS7_14TensorAccessorINS3_8ArrayRefIlEEKT_Lm4ENS6_16DefaultPtrTraitsElEENS_6detail16IndexBoundsCheckILm5ElEESD_Lm5ESE_lEENS8_INS9_ISB_SC_Lm4ESE_lEESI_SC_Lm5ESE_lEElllll,comdat
	.globl	_ZN2at6native12_GLOBAL__N_127reflection_pad3d_out_kernelIN3c104HalfEEEvN5torch10headeronly6detail27GenericPackedTensorAccessorINS7_14TensorAccessorINS3_8ArrayRefIlEEKT_Lm4ENS6_16DefaultPtrTraitsElEENS_6detail16IndexBoundsCheckILm5ElEESD_Lm5ESE_lEENS8_INS9_ISB_SC_Lm4ESE_lEESI_SC_Lm5ESE_lEElllll ; -- Begin function _ZN2at6native12_GLOBAL__N_127reflection_pad3d_out_kernelIN3c104HalfEEEvN5torch10headeronly6detail27GenericPackedTensorAccessorINS7_14TensorAccessorINS3_8ArrayRefIlEEKT_Lm4ENS6_16DefaultPtrTraitsElEENS_6detail16IndexBoundsCheckILm5ElEESD_Lm5ESE_lEENS8_INS9_ISB_SC_Lm4ESE_lEESI_SC_Lm5ESE_lEElllll
	.p2align	8
	.type	_ZN2at6native12_GLOBAL__N_127reflection_pad3d_out_kernelIN3c104HalfEEEvN5torch10headeronly6detail27GenericPackedTensorAccessorINS7_14TensorAccessorINS3_8ArrayRefIlEEKT_Lm4ENS6_16DefaultPtrTraitsElEENS_6detail16IndexBoundsCheckILm5ElEESD_Lm5ESE_lEENS8_INS9_ISB_SC_Lm4ESE_lEESI_SC_Lm5ESE_lEElllll,@function
_ZN2at6native12_GLOBAL__N_127reflection_pad3d_out_kernelIN3c104HalfEEEvN5torch10headeronly6detail27GenericPackedTensorAccessorINS7_14TensorAccessorINS3_8ArrayRefIlEEKT_Lm4ENS6_16DefaultPtrTraitsElEENS_6detail16IndexBoundsCheckILm5ElEESD_Lm5ESE_lEENS8_INS9_ISB_SC_Lm4ESE_lEESI_SC_Lm5ESE_lEElllll: ; @_ZN2at6native12_GLOBAL__N_127reflection_pad3d_out_kernelIN3c104HalfEEEvN5torch10headeronly6detail27GenericPackedTensorAccessorINS7_14TensorAccessorINS3_8ArrayRefIlEEKT_Lm4ENS6_16DefaultPtrTraitsElEENS_6detail16IndexBoundsCheckILm5ElEESD_Lm5ESE_lEENS8_INS9_ISB_SC_Lm4ESE_lEESI_SC_Lm5ESE_lEElllll
; %bb.0:
	s_load_dword s0, s[4:5], 0xe4
	s_load_dwordx4 s[12:15], s[4:5], 0x70
	s_load_dwordx2 s[10:11], s[4:5], 0x80
	v_mov_b32_e32 v2, 0
	v_mov_b32_e32 v1, v2
	s_waitcnt lgkmcnt(0)
	s_and_b32 s0, s0, 0xffff
	v_mov_b32_e32 v3, s6
	v_mad_u64_u32 v[0:1], s[0:1], s0, v3, v[0:1]
	s_mul_i32 s0, s10, s15
	s_mul_hi_u32 s1, s10, s14
	s_add_i32 s9, s1, s0
	s_mul_i32 s0, s11, s14
	s_mul_i32 s6, s10, s14
	s_add_i32 s9, s9, s0
	s_mul_i32 s0, s6, s13
	s_mul_hi_u32 s1, s6, s12
	s_add_i32 s0, s1, s0
	s_mul_i32 s1, s9, s12
	s_add_i32 s1, s0, s1
	s_mul_i32 s0, s6, s12
	v_cmp_gt_i64_e32 vcc, s[0:1], v[0:1]
	s_and_saveexec_b64 s[0:1], vcc
	s_cbranch_execz .LBB66_14
; %bb.1:
	v_or_b32_e32 v3, s11, v1
	v_cmp_ne_u64_e32 vcc, 0, v[2:3]
                                        ; implicit-def: $vgpr4_vgpr5
	s_and_saveexec_b64 s[0:1], vcc
	s_xor_b64 s[2:3], exec, s[0:1]
	s_cbranch_execz .LBB66_3
; %bb.2:
	s_ashr_i32 s12, s11, 31
	s_add_u32 s0, s10, s12
	s_mov_b32 s13, s12
	s_addc_u32 s1, s11, s12
	s_xor_b64 s[16:17], s[0:1], s[12:13]
	v_cvt_f32_u32_e32 v2, s16
	v_cvt_f32_u32_e32 v3, s17
	s_sub_u32 s0, 0, s16
	s_subb_u32 s1, 0, s17
	v_madmk_f32 v2, v3, 0x4f800000, v2
	v_rcp_f32_e32 v2, v2
	v_mul_f32_e32 v2, 0x5f7ffffc, v2
	v_mul_f32_e32 v3, 0x2f800000, v2
	v_trunc_f32_e32 v3, v3
	v_madmk_f32 v2, v3, 0xcf800000, v2
	v_cvt_u32_f32_e32 v3, v3
	v_cvt_u32_f32_e32 v2, v2
	v_mul_lo_u32 v4, s0, v3
	v_mul_hi_u32 v6, s0, v2
	v_mul_lo_u32 v5, s1, v2
	v_add_u32_e32 v4, v6, v4
	v_mul_lo_u32 v7, s0, v2
	v_add_u32_e32 v4, v4, v5
	v_mul_lo_u32 v6, v2, v4
	v_mul_hi_u32 v8, v2, v7
	v_mul_hi_u32 v5, v2, v4
	v_add_co_u32_e32 v6, vcc, v8, v6
	v_addc_co_u32_e32 v5, vcc, 0, v5, vcc
	v_mul_hi_u32 v9, v3, v7
	v_mul_lo_u32 v7, v3, v7
	v_add_co_u32_e32 v6, vcc, v6, v7
	v_mul_hi_u32 v8, v3, v4
	v_addc_co_u32_e32 v5, vcc, v5, v9, vcc
	v_addc_co_u32_e32 v6, vcc, 0, v8, vcc
	v_mul_lo_u32 v4, v3, v4
	v_add_co_u32_e32 v4, vcc, v5, v4
	v_addc_co_u32_e32 v5, vcc, 0, v6, vcc
	v_add_co_u32_e32 v2, vcc, v2, v4
	v_addc_co_u32_e32 v3, vcc, v3, v5, vcc
	v_mul_lo_u32 v4, s0, v3
	v_mul_hi_u32 v5, s0, v2
	v_add_u32_e32 v4, v5, v4
	v_mul_lo_u32 v5, s1, v2
	v_add_u32_e32 v4, v4, v5
	v_mul_lo_u32 v6, s0, v2
	v_mul_hi_u32 v7, v3, v6
	v_mul_lo_u32 v8, v3, v6
	v_mul_lo_u32 v10, v2, v4
	v_mul_hi_u32 v6, v2, v6
	v_mul_hi_u32 v9, v2, v4
	v_add_co_u32_e32 v6, vcc, v6, v10
	v_addc_co_u32_e32 v9, vcc, 0, v9, vcc
	v_add_co_u32_e32 v6, vcc, v6, v8
	v_mul_hi_u32 v5, v3, v4
	v_addc_co_u32_e32 v6, vcc, v9, v7, vcc
	v_addc_co_u32_e32 v5, vcc, 0, v5, vcc
	v_mul_lo_u32 v4, v3, v4
	v_add_co_u32_e32 v4, vcc, v6, v4
	v_addc_co_u32_e32 v5, vcc, 0, v5, vcc
	v_add_co_u32_e32 v4, vcc, v2, v4
	v_addc_co_u32_e32 v5, vcc, v3, v5, vcc
	v_ashrrev_i32_e32 v6, 31, v1
	v_add_co_u32_e32 v2, vcc, v0, v6
	v_addc_co_u32_e32 v3, vcc, v1, v6, vcc
	v_xor_b32_e32 v8, v2, v6
	v_xor_b32_e32 v7, v3, v6
	v_mad_u64_u32 v[2:3], s[0:1], v8, v5, 0
	v_mul_hi_u32 v9, v8, v4
	v_add_co_u32_e32 v9, vcc, v9, v2
	v_addc_co_u32_e32 v10, vcc, 0, v3, vcc
	v_mad_u64_u32 v[2:3], s[0:1], v7, v5, 0
	v_mad_u64_u32 v[4:5], s[0:1], v7, v4, 0
	v_add_co_u32_e32 v4, vcc, v9, v4
	v_addc_co_u32_e32 v4, vcc, v10, v5, vcc
	v_addc_co_u32_e32 v3, vcc, 0, v3, vcc
	v_add_co_u32_e32 v4, vcc, v4, v2
	v_addc_co_u32_e32 v5, vcc, 0, v3, vcc
	v_mul_lo_u32 v9, s17, v4
	v_mul_lo_u32 v10, s16, v5
	v_mad_u64_u32 v[2:3], s[0:1], s16, v4, 0
	v_add3_u32 v3, v3, v10, v9
	v_sub_u32_e32 v9, v7, v3
	v_mov_b32_e32 v10, s17
	v_sub_co_u32_e32 v2, vcc, v8, v2
	v_subb_co_u32_e64 v8, s[0:1], v9, v10, vcc
	v_subrev_co_u32_e64 v9, s[0:1], s16, v2
	v_subbrev_co_u32_e64 v8, s[0:1], 0, v8, s[0:1]
	v_cmp_le_u32_e64 s[0:1], s17, v8
	v_cndmask_b32_e64 v10, 0, -1, s[0:1]
	v_cmp_le_u32_e64 s[0:1], s16, v9
	v_cndmask_b32_e64 v9, 0, -1, s[0:1]
	v_cmp_eq_u32_e64 s[0:1], s17, v8
	v_cndmask_b32_e64 v8, v10, v9, s[0:1]
	v_add_co_u32_e64 v9, s[0:1], 2, v4
	v_subb_co_u32_e32 v3, vcc, v7, v3, vcc
	v_addc_co_u32_e64 v10, s[0:1], 0, v5, s[0:1]
	v_cmp_le_u32_e32 vcc, s17, v3
	v_add_co_u32_e64 v11, s[0:1], 1, v4
	v_cndmask_b32_e64 v7, 0, -1, vcc
	v_cmp_le_u32_e32 vcc, s16, v2
	v_addc_co_u32_e64 v12, s[0:1], 0, v5, s[0:1]
	v_cndmask_b32_e64 v2, 0, -1, vcc
	v_cmp_eq_u32_e32 vcc, s17, v3
	v_cmp_ne_u32_e64 s[0:1], 0, v8
	v_cndmask_b32_e32 v2, v7, v2, vcc
	v_cndmask_b32_e64 v8, v12, v10, s[0:1]
	v_cmp_ne_u32_e32 vcc, 0, v2
	v_cndmask_b32_e64 v3, v11, v9, s[0:1]
	v_cndmask_b32_e32 v2, v5, v8, vcc
	v_cndmask_b32_e32 v3, v4, v3, vcc
	v_xor_b32_e32 v5, s12, v6
	v_xor_b32_e32 v3, v3, v5
	;; [unrolled: 1-line block ×3, first 2 shown]
	v_sub_co_u32_e32 v4, vcc, v3, v5
	v_subb_co_u32_e32 v5, vcc, v2, v5, vcc
.LBB66_3:
	s_andn2_saveexec_b64 s[0:1], s[2:3]
	s_cbranch_execz .LBB66_5
; %bb.4:
	v_cvt_f32_u32_e32 v2, s10
	s_sub_i32 s2, 0, s10
	v_rcp_iflag_f32_e32 v2, v2
	v_mul_f32_e32 v2, 0x4f7ffffe, v2
	v_cvt_u32_f32_e32 v2, v2
	v_mul_lo_u32 v3, s2, v2
	v_mul_hi_u32 v3, v2, v3
	v_add_u32_e32 v2, v2, v3
	v_mul_hi_u32 v2, v0, v2
	v_mul_lo_u32 v3, v2, s10
	v_sub_u32_e32 v3, v0, v3
	v_add_u32_e32 v4, 1, v2
	v_subrev_u32_e32 v5, s10, v3
	v_cmp_le_u32_e32 vcc, s10, v3
	v_cndmask_b32_e32 v3, v3, v5, vcc
	v_cndmask_b32_e32 v2, v2, v4, vcc
	v_add_u32_e32 v4, 1, v2
	v_cmp_le_u32_e32 vcc, s10, v3
	v_cndmask_b32_e32 v4, v2, v4, vcc
	v_mov_b32_e32 v5, 0
.LBB66_5:
	s_or_b64 exec, exec, s[0:1]
	v_or_b32_e32 v3, s15, v5
	v_mov_b32_e32 v2, 0
	v_cmp_ne_u64_e32 vcc, 0, v[2:3]
                                        ; implicit-def: $vgpr2_vgpr3
	s_and_saveexec_b64 s[0:1], vcc
	s_xor_b64 s[12:13], exec, s[0:1]
	s_cbranch_execz .LBB66_7
; %bb.6:
	s_ashr_i32 s0, s15, 31
	s_add_u32 s2, s14, s0
	s_mov_b32 s1, s0
	s_addc_u32 s3, s15, s0
	s_xor_b64 s[16:17], s[2:3], s[0:1]
	v_cvt_f32_u32_e32 v2, s16
	v_cvt_f32_u32_e32 v3, s17
	s_sub_u32 s0, 0, s16
	s_subb_u32 s1, 0, s17
	v_madmk_f32 v2, v3, 0x4f800000, v2
	v_rcp_f32_e32 v2, v2
	v_mul_f32_e32 v2, 0x5f7ffffc, v2
	v_mul_f32_e32 v3, 0x2f800000, v2
	v_trunc_f32_e32 v3, v3
	v_madmk_f32 v2, v3, 0xcf800000, v2
	v_cvt_u32_f32_e32 v3, v3
	v_cvt_u32_f32_e32 v2, v2
	v_mul_lo_u32 v6, s0, v3
	v_mul_hi_u32 v8, s0, v2
	v_mul_lo_u32 v7, s1, v2
	v_add_u32_e32 v6, v8, v6
	v_mul_lo_u32 v9, s0, v2
	v_add_u32_e32 v6, v6, v7
	v_mul_lo_u32 v8, v2, v6
	v_mul_hi_u32 v10, v2, v9
	v_mul_hi_u32 v7, v2, v6
	v_add_co_u32_e32 v8, vcc, v10, v8
	v_addc_co_u32_e32 v7, vcc, 0, v7, vcc
	v_mul_hi_u32 v11, v3, v9
	v_mul_lo_u32 v9, v3, v9
	v_add_co_u32_e32 v8, vcc, v8, v9
	v_mul_hi_u32 v10, v3, v6
	v_addc_co_u32_e32 v7, vcc, v7, v11, vcc
	v_addc_co_u32_e32 v8, vcc, 0, v10, vcc
	v_mul_lo_u32 v6, v3, v6
	v_add_co_u32_e32 v6, vcc, v7, v6
	v_addc_co_u32_e32 v7, vcc, 0, v8, vcc
	v_add_co_u32_e32 v2, vcc, v2, v6
	v_addc_co_u32_e32 v3, vcc, v3, v7, vcc
	v_mul_lo_u32 v6, s0, v3
	v_mul_hi_u32 v7, s0, v2
	v_add_u32_e32 v6, v7, v6
	v_mul_lo_u32 v7, s1, v2
	v_add_u32_e32 v6, v6, v7
	v_mul_lo_u32 v8, s0, v2
	v_mul_hi_u32 v9, v3, v8
	v_mul_lo_u32 v10, v3, v8
	v_mul_lo_u32 v12, v2, v6
	v_mul_hi_u32 v8, v2, v8
	v_mul_hi_u32 v11, v2, v6
	v_add_co_u32_e32 v8, vcc, v8, v12
	v_addc_co_u32_e32 v11, vcc, 0, v11, vcc
	v_add_co_u32_e32 v8, vcc, v8, v10
	v_mul_hi_u32 v7, v3, v6
	v_addc_co_u32_e32 v8, vcc, v11, v9, vcc
	v_addc_co_u32_e32 v7, vcc, 0, v7, vcc
	v_mul_lo_u32 v6, v3, v6
	v_add_co_u32_e32 v6, vcc, v8, v6
	v_addc_co_u32_e32 v7, vcc, 0, v7, vcc
	v_add_co_u32_e32 v6, vcc, v2, v6
	v_addc_co_u32_e32 v7, vcc, v3, v7, vcc
	v_ashrrev_i32_e32 v8, 31, v5
	v_add_co_u32_e32 v2, vcc, v4, v8
	v_addc_co_u32_e32 v3, vcc, v5, v8, vcc
	v_xor_b32_e32 v10, v2, v8
	v_xor_b32_e32 v9, v3, v8
	v_mad_u64_u32 v[2:3], s[0:1], v10, v7, 0
	v_mul_hi_u32 v11, v10, v6
	v_add_co_u32_e32 v11, vcc, v11, v2
	v_addc_co_u32_e32 v12, vcc, 0, v3, vcc
	v_mad_u64_u32 v[2:3], s[0:1], v9, v7, 0
	v_mad_u64_u32 v[6:7], s[0:1], v9, v6, 0
	v_add_co_u32_e32 v6, vcc, v11, v6
	v_addc_co_u32_e32 v6, vcc, v12, v7, vcc
	v_addc_co_u32_e32 v3, vcc, 0, v3, vcc
	v_add_co_u32_e32 v2, vcc, v6, v2
	v_addc_co_u32_e32 v3, vcc, 0, v3, vcc
	v_mul_lo_u32 v6, s17, v2
	v_mul_lo_u32 v7, s16, v3
	v_mad_u64_u32 v[2:3], s[0:1], s16, v2, 0
	v_add3_u32 v3, v3, v7, v6
	v_sub_u32_e32 v6, v9, v3
	v_mov_b32_e32 v7, s17
	v_sub_co_u32_e32 v2, vcc, v10, v2
	v_subb_co_u32_e64 v6, s[0:1], v6, v7, vcc
	v_subrev_co_u32_e64 v10, s[0:1], s16, v2
	v_subbrev_co_u32_e64 v11, s[2:3], 0, v6, s[0:1]
	v_cmp_le_u32_e64 s[2:3], s17, v11
	v_cndmask_b32_e64 v12, 0, -1, s[2:3]
	v_cmp_le_u32_e64 s[2:3], s16, v10
	v_subb_co_u32_e64 v6, s[0:1], v6, v7, s[0:1]
	v_cndmask_b32_e64 v13, 0, -1, s[2:3]
	v_cmp_eq_u32_e64 s[2:3], s17, v11
	v_subrev_co_u32_e64 v7, s[0:1], s16, v10
	v_subb_co_u32_e32 v3, vcc, v9, v3, vcc
	v_cndmask_b32_e64 v12, v12, v13, s[2:3]
	v_subbrev_co_u32_e64 v6, s[0:1], 0, v6, s[0:1]
	v_cmp_le_u32_e32 vcc, s17, v3
	v_cmp_ne_u32_e64 s[0:1], 0, v12
	v_cndmask_b32_e64 v9, 0, -1, vcc
	v_cmp_le_u32_e32 vcc, s16, v2
	v_cndmask_b32_e64 v6, v11, v6, s[0:1]
	v_cndmask_b32_e64 v11, 0, -1, vcc
	v_cmp_eq_u32_e32 vcc, s17, v3
	v_cndmask_b32_e32 v9, v9, v11, vcc
	v_cmp_ne_u32_e32 vcc, 0, v9
	v_cndmask_b32_e32 v3, v3, v6, vcc
	v_cndmask_b32_e64 v6, v10, v7, s[0:1]
	v_cndmask_b32_e32 v2, v2, v6, vcc
	v_xor_b32_e32 v2, v2, v8
	v_xor_b32_e32 v3, v3, v8
	v_sub_co_u32_e32 v2, vcc, v2, v8
	v_subb_co_u32_e32 v3, vcc, v3, v8, vcc
.LBB66_7:
	s_or_saveexec_b64 s[0:1], s[12:13]
	s_load_dwordx2 s[2:3], s[4:5], 0xa8
	s_load_dwordx8 s[36:43], s[4:5], 0x88
	s_xor_b64 exec, exec, s[0:1]
	s_cbranch_execz .LBB66_9
; %bb.8:
	v_cvt_f32_u32_e32 v2, s14
	s_sub_i32 s12, 0, s14
	v_rcp_iflag_f32_e32 v2, v2
	v_mul_f32_e32 v2, 0x4f7ffffe, v2
	v_cvt_u32_f32_e32 v2, v2
	v_mul_lo_u32 v3, s12, v2
	v_mul_hi_u32 v3, v2, v3
	v_add_u32_e32 v2, v2, v3
	v_mul_hi_u32 v2, v4, v2
	v_mul_lo_u32 v2, v2, s14
	v_sub_u32_e32 v2, v4, v2
	v_subrev_u32_e32 v3, s14, v2
	v_cmp_le_u32_e32 vcc, s14, v2
	v_cndmask_b32_e32 v2, v2, v3, vcc
	v_subrev_u32_e32 v3, s14, v2
	v_cmp_le_u32_e32 vcc, s14, v2
	v_cndmask_b32_e32 v2, v2, v3, vcc
	v_mov_b32_e32 v3, 0
.LBB66_9:
	s_or_b64 exec, exec, s[0:1]
	s_load_dwordx2 s[28:29], s[4:5], 0x58
	s_load_dwordx2 s[30:31], s[4:5], 0x0
	v_or_b32_e32 v7, s9, v1
	v_mov_b32_e32 v6, 0
	v_cmp_ne_u64_e32 vcc, 0, v[6:7]
                                        ; implicit-def: $vgpr6_vgpr7
	s_and_saveexec_b64 s[0:1], vcc
	s_xor_b64 s[12:13], exec, s[0:1]
	s_cbranch_execz .LBB66_11
; %bb.10:
	s_ashr_i32 s14, s9, 31
	s_add_u32 s0, s6, s14
	s_mov_b32 s15, s14
	s_addc_u32 s1, s9, s14
	s_xor_b64 s[16:17], s[0:1], s[14:15]
	v_cvt_f32_u32_e32 v6, s16
	v_cvt_f32_u32_e32 v7, s17
	s_sub_u32 s0, 0, s16
	s_subb_u32 s1, 0, s17
	v_madmk_f32 v6, v7, 0x4f800000, v6
	v_rcp_f32_e32 v6, v6
	v_mul_f32_e32 v6, 0x5f7ffffc, v6
	v_mul_f32_e32 v7, 0x2f800000, v6
	v_trunc_f32_e32 v7, v7
	v_madmk_f32 v6, v7, 0xcf800000, v6
	v_cvt_u32_f32_e32 v7, v7
	v_cvt_u32_f32_e32 v6, v6
	v_mul_lo_u32 v8, s0, v7
	v_mul_hi_u32 v10, s0, v6
	v_mul_lo_u32 v9, s1, v6
	v_add_u32_e32 v8, v10, v8
	v_mul_lo_u32 v11, s0, v6
	v_add_u32_e32 v8, v8, v9
	v_mul_lo_u32 v10, v6, v8
	v_mul_hi_u32 v12, v6, v11
	v_mul_hi_u32 v9, v6, v8
	v_add_co_u32_e32 v10, vcc, v12, v10
	v_addc_co_u32_e32 v9, vcc, 0, v9, vcc
	v_mul_hi_u32 v13, v7, v11
	v_mul_lo_u32 v11, v7, v11
	v_add_co_u32_e32 v10, vcc, v10, v11
	v_mul_hi_u32 v12, v7, v8
	v_addc_co_u32_e32 v9, vcc, v9, v13, vcc
	v_addc_co_u32_e32 v10, vcc, 0, v12, vcc
	v_mul_lo_u32 v8, v7, v8
	v_add_co_u32_e32 v8, vcc, v9, v8
	v_addc_co_u32_e32 v9, vcc, 0, v10, vcc
	v_add_co_u32_e32 v6, vcc, v6, v8
	v_addc_co_u32_e32 v7, vcc, v7, v9, vcc
	v_mul_lo_u32 v8, s0, v7
	v_mul_hi_u32 v9, s0, v6
	v_add_u32_e32 v8, v9, v8
	v_mul_lo_u32 v9, s1, v6
	v_add_u32_e32 v8, v8, v9
	v_mul_lo_u32 v10, s0, v6
	v_mul_hi_u32 v11, v7, v10
	v_mul_lo_u32 v12, v7, v10
	v_mul_lo_u32 v14, v6, v8
	v_mul_hi_u32 v10, v6, v10
	v_mul_hi_u32 v13, v6, v8
	v_add_co_u32_e32 v10, vcc, v10, v14
	v_addc_co_u32_e32 v13, vcc, 0, v13, vcc
	v_add_co_u32_e32 v10, vcc, v10, v12
	v_mul_hi_u32 v9, v7, v8
	v_addc_co_u32_e32 v10, vcc, v13, v11, vcc
	v_addc_co_u32_e32 v9, vcc, 0, v9, vcc
	v_mul_lo_u32 v8, v7, v8
	v_add_co_u32_e32 v8, vcc, v10, v8
	v_addc_co_u32_e32 v9, vcc, 0, v9, vcc
	v_add_co_u32_e32 v8, vcc, v6, v8
	v_addc_co_u32_e32 v9, vcc, v7, v9, vcc
	v_ashrrev_i32_e32 v10, 31, v1
	v_add_co_u32_e32 v6, vcc, v0, v10
	v_addc_co_u32_e32 v7, vcc, v1, v10, vcc
	v_xor_b32_e32 v12, v6, v10
	v_xor_b32_e32 v11, v7, v10
	v_mad_u64_u32 v[6:7], s[0:1], v12, v9, 0
	v_mul_hi_u32 v13, v12, v8
	v_add_co_u32_e32 v13, vcc, v13, v6
	v_addc_co_u32_e32 v14, vcc, 0, v7, vcc
	v_mad_u64_u32 v[6:7], s[0:1], v11, v9, 0
	v_mad_u64_u32 v[8:9], s[0:1], v11, v8, 0
	v_add_co_u32_e32 v8, vcc, v13, v8
	v_addc_co_u32_e32 v8, vcc, v14, v9, vcc
	v_addc_co_u32_e32 v7, vcc, 0, v7, vcc
	v_add_co_u32_e32 v8, vcc, v8, v6
	v_addc_co_u32_e32 v9, vcc, 0, v7, vcc
	v_mul_lo_u32 v13, s17, v8
	v_mul_lo_u32 v14, s16, v9
	v_mad_u64_u32 v[6:7], s[0:1], s16, v8, 0
	v_add3_u32 v7, v7, v14, v13
	v_sub_u32_e32 v13, v11, v7
	v_mov_b32_e32 v14, s17
	v_sub_co_u32_e32 v6, vcc, v12, v6
	v_subb_co_u32_e64 v12, s[0:1], v13, v14, vcc
	v_subrev_co_u32_e64 v13, s[0:1], s16, v6
	v_subbrev_co_u32_e64 v12, s[0:1], 0, v12, s[0:1]
	v_cmp_le_u32_e64 s[0:1], s17, v12
	v_cndmask_b32_e64 v14, 0, -1, s[0:1]
	v_cmp_le_u32_e64 s[0:1], s16, v13
	v_cndmask_b32_e64 v13, 0, -1, s[0:1]
	v_cmp_eq_u32_e64 s[0:1], s17, v12
	v_cndmask_b32_e64 v12, v14, v13, s[0:1]
	v_add_co_u32_e64 v13, s[0:1], 2, v8
	v_subb_co_u32_e32 v7, vcc, v11, v7, vcc
	v_addc_co_u32_e64 v14, s[0:1], 0, v9, s[0:1]
	v_cmp_le_u32_e32 vcc, s17, v7
	v_add_co_u32_e64 v15, s[0:1], 1, v8
	v_cndmask_b32_e64 v11, 0, -1, vcc
	v_cmp_le_u32_e32 vcc, s16, v6
	v_addc_co_u32_e64 v16, s[0:1], 0, v9, s[0:1]
	v_cndmask_b32_e64 v6, 0, -1, vcc
	v_cmp_eq_u32_e32 vcc, s17, v7
	v_cmp_ne_u32_e64 s[0:1], 0, v12
	v_cndmask_b32_e32 v6, v11, v6, vcc
	v_cndmask_b32_e64 v12, v16, v14, s[0:1]
	v_cmp_ne_u32_e32 vcc, 0, v6
	v_cndmask_b32_e64 v7, v15, v13, s[0:1]
	v_cndmask_b32_e32 v6, v9, v12, vcc
	v_cndmask_b32_e32 v7, v8, v7, vcc
	v_xor_b32_e32 v8, s14, v10
	v_xor_b32_e32 v9, v6, v8
	;; [unrolled: 1-line block ×3, first 2 shown]
	v_sub_co_u32_e32 v6, vcc, v6, v8
	v_subb_co_u32_e32 v7, vcc, v9, v8, vcc
.LBB66_11:
	s_or_saveexec_b64 s[0:1], s[12:13]
	s_load_dwordx16 s[12:27], s[4:5], 0x18
	s_xor_b64 exec, exec, s[0:1]
	s_cbranch_execz .LBB66_13
; %bb.12:
	v_cvt_f32_u32_e32 v6, s6
	s_sub_i32 s9, 0, s6
	v_rcp_iflag_f32_e32 v6, v6
	v_mul_f32_e32 v6, 0x4f7ffffe, v6
	v_cvt_u32_f32_e32 v6, v6
	v_mul_lo_u32 v7, s9, v6
	v_mul_hi_u32 v7, v6, v7
	v_add_u32_e32 v6, v6, v7
	v_mul_hi_u32 v6, v0, v6
	v_mul_lo_u32 v7, v6, s6
	v_sub_u32_e32 v7, v0, v7
	v_add_u32_e32 v8, 1, v6
	v_subrev_u32_e32 v9, s6, v7
	v_cmp_le_u32_e32 vcc, s6, v7
	v_cndmask_b32_e32 v7, v7, v9, vcc
	v_cndmask_b32_e32 v6, v6, v8, vcc
	v_add_u32_e32 v8, 1, v6
	v_cmp_le_u32_e32 vcc, s6, v7
	v_cndmask_b32_e32 v6, v6, v8, vcc
	v_mov_b32_e32 v7, 0
.LBB66_13:
	s_or_b64 exec, exec, s[0:1]
	s_load_dwordx8 s[44:51], s[4:5], 0xb0
	v_mul_lo_u32 v8, v5, s10
	v_mul_lo_u32 v9, v4, s11
	v_mad_u64_u32 v[4:5], s[0:1], v4, s10, 0
	s_load_dwordx2 s[0:1], s[4:5], 0xd0
	s_waitcnt lgkmcnt(0)
	s_sub_u32 s4, 0, s44
	s_subb_u32 s5, 0, s45
	s_sub_u32 s10, 0, s46
	s_subb_u32 s11, 0, s47
	;; [unrolled: 2-line block ×3, first 2 shown]
	v_cmp_gt_i64_e64 s[52:53], s[4:5], 0
	s_and_b64 s[52:53], s[52:53], exec
	s_cselect_b32 s6, s5, 0
	s_cselect_b32 s9, s4, 0
	v_cmp_gt_i64_e64 s[4:5], s[44:45], 0
	s_and_b64 s[4:5], s[4:5], exec
	v_cmp_gt_i64_e64 s[4:5], s[10:11], 0
	s_cselect_b32 s53, s45, 0
	s_cselect_b32 s52, s44, 0
	s_and_b64 s[4:5], s[4:5], exec
	v_add3_u32 v5, v5, v9, v8
	v_sub_co_u32_e32 v0, vcc, v0, v4
	v_cmp_gt_i64_e64 s[4:5], s[46:47], 0
	v_subb_co_u32_e32 v1, vcc, v1, v5, vcc
	s_cselect_b32 s33, s11, 0
	s_cselect_b32 s54, s10, 0
	s_and_b64 s[4:5], s[4:5], exec
	v_cmp_gt_i64_e64 s[4:5], s[34:35], 0
	v_mov_b32_e32 v5, s45
	v_subrev_co_u32_e32 v4, vcc, s44, v0
	s_cselect_b32 s11, s47, 0
	s_cselect_b32 s10, s46, 0
	s_and_b64 s[4:5], s[4:5], exec
	v_subb_co_u32_e32 v5, vcc, v1, v5, vcc
	v_cmp_gt_i64_e64 s[4:5], s[48:49], 0
	v_ashrrev_i32_e32 v8, 31, v5
	s_cselect_b32 s55, s35, 0
	s_cselect_b32 s56, s34, 0
	s_and_b64 s[4:5], s[4:5], exec
	v_xor_b32_e32 v4, v4, v8
	s_cselect_b32 s5, s49, 0
	s_cselect_b32 s4, s48, 0
	v_xor_b32_e32 v5, v5, v8
	v_sub_co_u32_e32 v9, vcc, v4, v8
	s_add_u32 s34, s16, s44
	v_subb_co_u32_e32 v8, vcc, v5, v8, vcc
	s_addc_u32 s35, s17, s45
	v_mov_b32_e32 v5, s35
	v_subrev_co_u32_e32 v4, vcc, s34, v0
	v_subb_co_u32_e32 v5, vcc, v1, v5, vcc
	v_add_co_u32_e32 v4, vcc, 1, v4
	v_addc_co_u32_e32 v5, vcc, 0, v5, vcc
	s_lshl_b64 s[34:35], s[44:45], 1
	s_not_b64 s[44:45], s[52:53]
	v_ashrrev_i32_e32 v10, 31, v5
	s_add_u32 s34, s34, s44
	v_xor_b32_e32 v4, v4, v10
	s_addc_u32 s35, s35, s45
	v_xor_b32_e32 v5, v5, v10
	v_sub_co_u32_e32 v4, vcc, v4, v10
	s_add_u32 s9, s34, s9
	v_subb_co_u32_e32 v5, vcc, v5, v10, vcc
	s_addc_u32 s6, s35, s6
	s_add_u32 s9, s9, s16
	v_add_co_u32_e32 v4, vcc, v0, v4
	s_addc_u32 s6, s6, s17
	v_addc_co_u32_e32 v5, vcc, v1, v5, vcc
	v_mov_b32_e32 v10, s6
	v_sub_co_u32_e32 v4, vcc, s9, v4
	v_subb_co_u32_e32 v5, vcc, v10, v5, vcc
	v_add_co_u32_e32 v9, vcc, v4, v9
	v_addc_co_u32_e32 v8, vcc, v5, v8, vcc
	v_mov_b32_e32 v4, s47
	v_subrev_co_u32_e32 v5, vcc, s46, v2
	v_subb_co_u32_e32 v4, vcc, v3, v4, vcc
	v_ashrrev_i32_e32 v10, 31, v4
	v_xor_b32_e32 v5, v5, v10
	v_xor_b32_e32 v4, v4, v10
	v_sub_co_u32_e32 v5, vcc, v5, v10
	s_add_u32 s6, s14, s46
	v_subb_co_u32_e32 v4, vcc, v4, v10, vcc
	s_addc_u32 s9, s15, s47
	v_mov_b32_e32 v10, s9
	v_subrev_co_u32_e32 v11, vcc, s6, v2
	v_subb_co_u32_e32 v10, vcc, v3, v10, vcc
	v_add_co_u32_e32 v11, vcc, 1, v11
	v_addc_co_u32_e32 v10, vcc, 0, v10, vcc
	s_lshl_b64 s[16:17], s[46:47], 1
	s_not_b64 s[10:11], s[10:11]
	v_ashrrev_i32_e32 v12, 31, v10
	s_add_u32 s6, s16, s10
	v_xor_b32_e32 v11, v11, v12
	s_addc_u32 s9, s17, s11
	v_xor_b32_e32 v10, v10, v12
	v_sub_co_u32_e32 v11, vcc, v11, v12
	s_add_u32 s6, s6, s54
	v_subb_co_u32_e32 v10, vcc, v10, v12, vcc
	s_addc_u32 s9, s9, s33
	s_add_u32 s6, s6, s14
	v_add_co_u32_e32 v11, vcc, v2, v11
	s_addc_u32 s9, s9, s15
	v_addc_co_u32_e32 v10, vcc, v3, v10, vcc
	v_mov_b32_e32 v12, s9
	v_sub_co_u32_e32 v11, vcc, s6, v11
	v_subb_co_u32_e32 v10, vcc, v12, v10, vcc
	v_add_co_u32_e32 v11, vcc, v11, v5
	v_addc_co_u32_e32 v10, vcc, v10, v4, vcc
	v_mov_b32_e32 v4, s49
	v_subrev_co_u32_e32 v5, vcc, s48, v6
	v_subb_co_u32_e32 v4, vcc, v7, v4, vcc
	v_ashrrev_i32_e32 v12, 31, v4
	v_xor_b32_e32 v5, v5, v12
	v_xor_b32_e32 v4, v4, v12
	v_sub_co_u32_e32 v5, vcc, v5, v12
	s_add_u32 s6, s12, s48
	v_subb_co_u32_e32 v4, vcc, v4, v12, vcc
	s_addc_u32 s9, s13, s49
	v_mov_b32_e32 v12, s9
	v_subrev_co_u32_e32 v13, vcc, s6, v6
	v_subb_co_u32_e32 v12, vcc, v7, v12, vcc
	v_add_co_u32_e32 v13, vcc, 1, v13
	v_addc_co_u32_e32 v12, vcc, 0, v12, vcc
	s_lshl_b64 s[10:11], s[48:49], 1
	s_not_b64 s[4:5], s[4:5]
	v_ashrrev_i32_e32 v14, 31, v12
	s_add_u32 s4, s10, s4
	v_xor_b32_e32 v13, v13, v14
	s_addc_u32 s5, s11, s5
	v_xor_b32_e32 v12, v12, v14
	v_sub_co_u32_e32 v13, vcc, v13, v14
	s_add_u32 s4, s4, s56
	v_subb_co_u32_e32 v12, vcc, v12, v14, vcc
	s_addc_u32 s5, s5, s55
	s_add_u32 s4, s4, s12
	v_add_co_u32_e32 v13, vcc, v6, v13
	s_addc_u32 s5, s5, s13
	v_addc_co_u32_e32 v12, vcc, v7, v12, vcc
	v_sub_co_u32_e32 v13, vcc, s4, v13
	s_add_u32 s4, s7, s50
	v_mov_b32_e32 v14, s5
	s_addc_u32 s5, 0, s51
	s_add_u32 s6, s8, s0
	s_addc_u32 s7, 0, s1
	s_mul_i32 s0, s18, s7
	s_mul_hi_u32 s1, s18, s6
	s_add_i32 s0, s1, s0
	s_mul_i32 s1, s19, s6
	s_add_i32 s1, s0, s1
	s_mul_i32 s0, s18, s6
	s_lshl_b64 s[0:1], s[0:1], 1
	s_add_u32 s8, s30, s0
	s_addc_u32 s9, s31, s1
	s_mul_i32 s0, s20, s5
	s_mul_hi_u32 s1, s20, s4
	s_add_i32 s0, s1, s0
	s_mul_i32 s1, s21, s4
	v_subb_co_u32_e32 v12, vcc, v14, v12, vcc
	s_add_i32 s1, s0, s1
	s_mul_i32 s0, s20, s4
	v_add_co_u32_e32 v5, vcc, v13, v5
	s_lshl_b64 s[0:1], s[0:1], 1
	v_addc_co_u32_e32 v4, vcc, v12, v4, vcc
	s_add_u32 s8, s8, s0
	s_addc_u32 s9, s9, s1
	v_mul_lo_u32 v12, v4, s22
	v_mul_lo_u32 v13, v5, s23
	v_mad_u64_u32 v[4:5], s[0:1], v5, s22, 0
	v_add3_u32 v5, v5, v13, v12
	v_lshlrev_b64 v[4:5], 1, v[4:5]
	v_mov_b32_e32 v12, s9
	v_add_co_u32_e32 v13, vcc, s8, v4
	v_addc_co_u32_e32 v12, vcc, v12, v5, vcc
	v_mul_lo_u32 v10, v10, s24
	v_mul_lo_u32 v14, v11, s25
	v_mad_u64_u32 v[4:5], s[0:1], v11, s24, 0
	v_add3_u32 v5, v5, v14, v10
	v_lshlrev_b64 v[4:5], 1, v[4:5]
	v_add_co_u32_e32 v10, vcc, v13, v4
	v_addc_co_u32_e32 v11, vcc, v12, v5, vcc
	v_mul_lo_u32 v8, v8, s26
	v_mul_lo_u32 v12, v9, s27
	v_mad_u64_u32 v[4:5], s[0:1], v9, s26, 0
	v_add3_u32 v5, v5, v12, v8
	v_lshlrev_b64 v[4:5], 1, v[4:5]
	v_add_co_u32_e32 v4, vcc, v10, v4
	v_addc_co_u32_e32 v5, vcc, v11, v5, vcc
	global_load_ushort v8, v[4:5], off
	s_mul_i32 s0, s36, s7
	s_mul_hi_u32 s1, s36, s6
	s_add_i32 s0, s1, s0
	s_mul_i32 s1, s37, s6
	s_add_i32 s1, s0, s1
	s_mul_i32 s0, s36, s6
	s_lshl_b64 s[0:1], s[0:1], 1
	s_add_u32 s6, s28, s0
	s_addc_u32 s7, s29, s1
	s_mul_i32 s0, s38, s5
	s_mul_hi_u32 s1, s38, s4
	s_add_i32 s0, s1, s0
	s_mul_i32 s1, s39, s4
	s_add_i32 s1, s0, s1
	s_mul_i32 s0, s38, s4
	s_lshl_b64 s[0:1], s[0:1], 1
	s_add_u32 s4, s6, s0
	s_addc_u32 s5, s7, s1
	v_mul_lo_u32 v7, v7, s40
	v_mul_lo_u32 v9, v6, s41
	v_mad_u64_u32 v[4:5], s[0:1], v6, s40, 0
	v_add3_u32 v5, v5, v9, v7
	v_lshlrev_b64 v[4:5], 1, v[4:5]
	v_mov_b32_e32 v6, s5
	v_add_co_u32_e32 v4, vcc, s4, v4
	v_addc_co_u32_e32 v5, vcc, v6, v5, vcc
	v_mul_lo_u32 v6, v3, s42
	v_mul_lo_u32 v7, v2, s43
	v_mad_u64_u32 v[2:3], s[0:1], v2, s42, 0
	v_add3_u32 v3, v3, v7, v6
	v_lshlrev_b64 v[2:3], 1, v[2:3]
	v_add_co_u32_e32 v2, vcc, v4, v2
	v_addc_co_u32_e32 v3, vcc, v5, v3, vcc
	v_mul_lo_u32 v4, v1, s2
	v_mul_lo_u32 v5, v0, s3
	v_mad_u64_u32 v[0:1], s[0:1], v0, s2, 0
	v_add3_u32 v1, v1, v5, v4
	v_lshlrev_b64 v[0:1], 1, v[0:1]
	v_add_co_u32_e32 v0, vcc, v2, v0
	v_addc_co_u32_e32 v1, vcc, v3, v1, vcc
	s_waitcnt vmcnt(0)
	global_store_short v[0:1], v8, off
.LBB66_14:
	s_endpgm
	.section	.rodata,"a",@progbits
	.p2align	6, 0x0
	.amdhsa_kernel _ZN2at6native12_GLOBAL__N_127reflection_pad3d_out_kernelIN3c104HalfEEEvN5torch10headeronly6detail27GenericPackedTensorAccessorINS7_14TensorAccessorINS3_8ArrayRefIlEEKT_Lm4ENS6_16DefaultPtrTraitsElEENS_6detail16IndexBoundsCheckILm5ElEESD_Lm5ESE_lEENS8_INS9_ISB_SC_Lm4ESE_lEESI_SC_Lm5ESE_lEElllll
		.amdhsa_group_segment_fixed_size 0
		.amdhsa_private_segment_fixed_size 0
		.amdhsa_kernarg_size 472
		.amdhsa_user_sgpr_count 6
		.amdhsa_user_sgpr_private_segment_buffer 1
		.amdhsa_user_sgpr_dispatch_ptr 0
		.amdhsa_user_sgpr_queue_ptr 0
		.amdhsa_user_sgpr_kernarg_segment_ptr 1
		.amdhsa_user_sgpr_dispatch_id 0
		.amdhsa_user_sgpr_flat_scratch_init 0
		.amdhsa_user_sgpr_kernarg_preload_length 0
		.amdhsa_user_sgpr_kernarg_preload_offset 0
		.amdhsa_user_sgpr_private_segment_size 0
		.amdhsa_uses_dynamic_stack 0
		.amdhsa_system_sgpr_private_segment_wavefront_offset 0
		.amdhsa_system_sgpr_workgroup_id_x 1
		.amdhsa_system_sgpr_workgroup_id_y 1
		.amdhsa_system_sgpr_workgroup_id_z 1
		.amdhsa_system_sgpr_workgroup_info 0
		.amdhsa_system_vgpr_workitem_id 0
		.amdhsa_next_free_vgpr 17
		.amdhsa_next_free_sgpr 57
		.amdhsa_accum_offset 20
		.amdhsa_reserve_vcc 1
		.amdhsa_reserve_flat_scratch 0
		.amdhsa_float_round_mode_32 0
		.amdhsa_float_round_mode_16_64 0
		.amdhsa_float_denorm_mode_32 3
		.amdhsa_float_denorm_mode_16_64 3
		.amdhsa_dx10_clamp 1
		.amdhsa_ieee_mode 1
		.amdhsa_fp16_overflow 0
		.amdhsa_tg_split 0
		.amdhsa_exception_fp_ieee_invalid_op 0
		.amdhsa_exception_fp_denorm_src 0
		.amdhsa_exception_fp_ieee_div_zero 0
		.amdhsa_exception_fp_ieee_overflow 0
		.amdhsa_exception_fp_ieee_underflow 0
		.amdhsa_exception_fp_ieee_inexact 0
		.amdhsa_exception_int_div_zero 0
	.end_amdhsa_kernel
	.section	.text._ZN2at6native12_GLOBAL__N_127reflection_pad3d_out_kernelIN3c104HalfEEEvN5torch10headeronly6detail27GenericPackedTensorAccessorINS7_14TensorAccessorINS3_8ArrayRefIlEEKT_Lm4ENS6_16DefaultPtrTraitsElEENS_6detail16IndexBoundsCheckILm5ElEESD_Lm5ESE_lEENS8_INS9_ISB_SC_Lm4ESE_lEESI_SC_Lm5ESE_lEElllll,"axG",@progbits,_ZN2at6native12_GLOBAL__N_127reflection_pad3d_out_kernelIN3c104HalfEEEvN5torch10headeronly6detail27GenericPackedTensorAccessorINS7_14TensorAccessorINS3_8ArrayRefIlEEKT_Lm4ENS6_16DefaultPtrTraitsElEENS_6detail16IndexBoundsCheckILm5ElEESD_Lm5ESE_lEENS8_INS9_ISB_SC_Lm4ESE_lEESI_SC_Lm5ESE_lEElllll,comdat
.Lfunc_end66:
	.size	_ZN2at6native12_GLOBAL__N_127reflection_pad3d_out_kernelIN3c104HalfEEEvN5torch10headeronly6detail27GenericPackedTensorAccessorINS7_14TensorAccessorINS3_8ArrayRefIlEEKT_Lm4ENS6_16DefaultPtrTraitsElEENS_6detail16IndexBoundsCheckILm5ElEESD_Lm5ESE_lEENS8_INS9_ISB_SC_Lm4ESE_lEESI_SC_Lm5ESE_lEElllll, .Lfunc_end66-_ZN2at6native12_GLOBAL__N_127reflection_pad3d_out_kernelIN3c104HalfEEEvN5torch10headeronly6detail27GenericPackedTensorAccessorINS7_14TensorAccessorINS3_8ArrayRefIlEEKT_Lm4ENS6_16DefaultPtrTraitsElEENS_6detail16IndexBoundsCheckILm5ElEESD_Lm5ESE_lEENS8_INS9_ISB_SC_Lm4ESE_lEESI_SC_Lm5ESE_lEElllll
                                        ; -- End function
	.section	.AMDGPU.csdata,"",@progbits
; Kernel info:
; codeLenInByte = 3680
; NumSgprs: 61
; NumVgprs: 17
; NumAgprs: 0
; TotalNumVgprs: 17
; ScratchSize: 0
; MemoryBound: 0
; FloatMode: 240
; IeeeMode: 1
; LDSByteSize: 0 bytes/workgroup (compile time only)
; SGPRBlocks: 7
; VGPRBlocks: 2
; NumSGPRsForWavesPerEU: 61
; NumVGPRsForWavesPerEU: 17
; AccumOffset: 20
; Occupancy: 8
; WaveLimiterHint : 0
; COMPUTE_PGM_RSRC2:SCRATCH_EN: 0
; COMPUTE_PGM_RSRC2:USER_SGPR: 6
; COMPUTE_PGM_RSRC2:TRAP_HANDLER: 0
; COMPUTE_PGM_RSRC2:TGID_X_EN: 1
; COMPUTE_PGM_RSRC2:TGID_Y_EN: 1
; COMPUTE_PGM_RSRC2:TGID_Z_EN: 1
; COMPUTE_PGM_RSRC2:TIDIG_COMP_CNT: 0
; COMPUTE_PGM_RSRC3_GFX90A:ACCUM_OFFSET: 4
; COMPUTE_PGM_RSRC3_GFX90A:TG_SPLIT: 0
	.section	.text._ZN2at6native12_GLOBAL__N_127reflection_pad3d_out_kernelIN3c108BFloat16EEEvN5torch10headeronly6detail27GenericPackedTensorAccessorINS7_14TensorAccessorINS3_8ArrayRefIlEEKT_Lm4ENS6_16DefaultPtrTraitsElEENS_6detail16IndexBoundsCheckILm5ElEESD_Lm5ESE_lEENS8_INS9_ISB_SC_Lm4ESE_lEESI_SC_Lm5ESE_lEElllll,"axG",@progbits,_ZN2at6native12_GLOBAL__N_127reflection_pad3d_out_kernelIN3c108BFloat16EEEvN5torch10headeronly6detail27GenericPackedTensorAccessorINS7_14TensorAccessorINS3_8ArrayRefIlEEKT_Lm4ENS6_16DefaultPtrTraitsElEENS_6detail16IndexBoundsCheckILm5ElEESD_Lm5ESE_lEENS8_INS9_ISB_SC_Lm4ESE_lEESI_SC_Lm5ESE_lEElllll,comdat
	.globl	_ZN2at6native12_GLOBAL__N_127reflection_pad3d_out_kernelIN3c108BFloat16EEEvN5torch10headeronly6detail27GenericPackedTensorAccessorINS7_14TensorAccessorINS3_8ArrayRefIlEEKT_Lm4ENS6_16DefaultPtrTraitsElEENS_6detail16IndexBoundsCheckILm5ElEESD_Lm5ESE_lEENS8_INS9_ISB_SC_Lm4ESE_lEESI_SC_Lm5ESE_lEElllll ; -- Begin function _ZN2at6native12_GLOBAL__N_127reflection_pad3d_out_kernelIN3c108BFloat16EEEvN5torch10headeronly6detail27GenericPackedTensorAccessorINS7_14TensorAccessorINS3_8ArrayRefIlEEKT_Lm4ENS6_16DefaultPtrTraitsElEENS_6detail16IndexBoundsCheckILm5ElEESD_Lm5ESE_lEENS8_INS9_ISB_SC_Lm4ESE_lEESI_SC_Lm5ESE_lEElllll
	.p2align	8
	.type	_ZN2at6native12_GLOBAL__N_127reflection_pad3d_out_kernelIN3c108BFloat16EEEvN5torch10headeronly6detail27GenericPackedTensorAccessorINS7_14TensorAccessorINS3_8ArrayRefIlEEKT_Lm4ENS6_16DefaultPtrTraitsElEENS_6detail16IndexBoundsCheckILm5ElEESD_Lm5ESE_lEENS8_INS9_ISB_SC_Lm4ESE_lEESI_SC_Lm5ESE_lEElllll,@function
_ZN2at6native12_GLOBAL__N_127reflection_pad3d_out_kernelIN3c108BFloat16EEEvN5torch10headeronly6detail27GenericPackedTensorAccessorINS7_14TensorAccessorINS3_8ArrayRefIlEEKT_Lm4ENS6_16DefaultPtrTraitsElEENS_6detail16IndexBoundsCheckILm5ElEESD_Lm5ESE_lEENS8_INS9_ISB_SC_Lm4ESE_lEESI_SC_Lm5ESE_lEElllll: ; @_ZN2at6native12_GLOBAL__N_127reflection_pad3d_out_kernelIN3c108BFloat16EEEvN5torch10headeronly6detail27GenericPackedTensorAccessorINS7_14TensorAccessorINS3_8ArrayRefIlEEKT_Lm4ENS6_16DefaultPtrTraitsElEENS_6detail16IndexBoundsCheckILm5ElEESD_Lm5ESE_lEENS8_INS9_ISB_SC_Lm4ESE_lEESI_SC_Lm5ESE_lEElllll
; %bb.0:
	s_load_dword s0, s[4:5], 0xe4
	s_load_dwordx4 s[12:15], s[4:5], 0x70
	s_load_dwordx2 s[10:11], s[4:5], 0x80
	v_mov_b32_e32 v2, 0
	v_mov_b32_e32 v1, v2
	s_waitcnt lgkmcnt(0)
	s_and_b32 s0, s0, 0xffff
	v_mov_b32_e32 v3, s6
	v_mad_u64_u32 v[0:1], s[0:1], s0, v3, v[0:1]
	s_mul_i32 s0, s10, s15
	s_mul_hi_u32 s1, s10, s14
	s_add_i32 s9, s1, s0
	s_mul_i32 s0, s11, s14
	s_mul_i32 s6, s10, s14
	s_add_i32 s9, s9, s0
	s_mul_i32 s0, s6, s13
	s_mul_hi_u32 s1, s6, s12
	s_add_i32 s0, s1, s0
	s_mul_i32 s1, s9, s12
	s_add_i32 s1, s0, s1
	s_mul_i32 s0, s6, s12
	v_cmp_gt_i64_e32 vcc, s[0:1], v[0:1]
	s_and_saveexec_b64 s[0:1], vcc
	s_cbranch_execz .LBB67_14
; %bb.1:
	v_or_b32_e32 v3, s11, v1
	v_cmp_ne_u64_e32 vcc, 0, v[2:3]
                                        ; implicit-def: $vgpr4_vgpr5
	s_and_saveexec_b64 s[0:1], vcc
	s_xor_b64 s[2:3], exec, s[0:1]
	s_cbranch_execz .LBB67_3
; %bb.2:
	s_ashr_i32 s12, s11, 31
	s_add_u32 s0, s10, s12
	s_mov_b32 s13, s12
	s_addc_u32 s1, s11, s12
	s_xor_b64 s[16:17], s[0:1], s[12:13]
	v_cvt_f32_u32_e32 v2, s16
	v_cvt_f32_u32_e32 v3, s17
	s_sub_u32 s0, 0, s16
	s_subb_u32 s1, 0, s17
	v_madmk_f32 v2, v3, 0x4f800000, v2
	v_rcp_f32_e32 v2, v2
	v_mul_f32_e32 v2, 0x5f7ffffc, v2
	v_mul_f32_e32 v3, 0x2f800000, v2
	v_trunc_f32_e32 v3, v3
	v_madmk_f32 v2, v3, 0xcf800000, v2
	v_cvt_u32_f32_e32 v3, v3
	v_cvt_u32_f32_e32 v2, v2
	v_mul_lo_u32 v4, s0, v3
	v_mul_hi_u32 v6, s0, v2
	v_mul_lo_u32 v5, s1, v2
	v_add_u32_e32 v4, v6, v4
	v_mul_lo_u32 v7, s0, v2
	v_add_u32_e32 v4, v4, v5
	v_mul_lo_u32 v6, v2, v4
	v_mul_hi_u32 v8, v2, v7
	v_mul_hi_u32 v5, v2, v4
	v_add_co_u32_e32 v6, vcc, v8, v6
	v_addc_co_u32_e32 v5, vcc, 0, v5, vcc
	v_mul_hi_u32 v9, v3, v7
	v_mul_lo_u32 v7, v3, v7
	v_add_co_u32_e32 v6, vcc, v6, v7
	v_mul_hi_u32 v8, v3, v4
	v_addc_co_u32_e32 v5, vcc, v5, v9, vcc
	v_addc_co_u32_e32 v6, vcc, 0, v8, vcc
	v_mul_lo_u32 v4, v3, v4
	v_add_co_u32_e32 v4, vcc, v5, v4
	v_addc_co_u32_e32 v5, vcc, 0, v6, vcc
	v_add_co_u32_e32 v2, vcc, v2, v4
	v_addc_co_u32_e32 v3, vcc, v3, v5, vcc
	v_mul_lo_u32 v4, s0, v3
	v_mul_hi_u32 v5, s0, v2
	v_add_u32_e32 v4, v5, v4
	v_mul_lo_u32 v5, s1, v2
	v_add_u32_e32 v4, v4, v5
	v_mul_lo_u32 v6, s0, v2
	v_mul_hi_u32 v7, v3, v6
	v_mul_lo_u32 v8, v3, v6
	v_mul_lo_u32 v10, v2, v4
	v_mul_hi_u32 v6, v2, v6
	v_mul_hi_u32 v9, v2, v4
	v_add_co_u32_e32 v6, vcc, v6, v10
	v_addc_co_u32_e32 v9, vcc, 0, v9, vcc
	v_add_co_u32_e32 v6, vcc, v6, v8
	v_mul_hi_u32 v5, v3, v4
	v_addc_co_u32_e32 v6, vcc, v9, v7, vcc
	v_addc_co_u32_e32 v5, vcc, 0, v5, vcc
	v_mul_lo_u32 v4, v3, v4
	v_add_co_u32_e32 v4, vcc, v6, v4
	v_addc_co_u32_e32 v5, vcc, 0, v5, vcc
	v_add_co_u32_e32 v4, vcc, v2, v4
	v_addc_co_u32_e32 v5, vcc, v3, v5, vcc
	v_ashrrev_i32_e32 v6, 31, v1
	v_add_co_u32_e32 v2, vcc, v0, v6
	v_addc_co_u32_e32 v3, vcc, v1, v6, vcc
	v_xor_b32_e32 v8, v2, v6
	v_xor_b32_e32 v7, v3, v6
	v_mad_u64_u32 v[2:3], s[0:1], v8, v5, 0
	v_mul_hi_u32 v9, v8, v4
	v_add_co_u32_e32 v9, vcc, v9, v2
	v_addc_co_u32_e32 v10, vcc, 0, v3, vcc
	v_mad_u64_u32 v[2:3], s[0:1], v7, v5, 0
	v_mad_u64_u32 v[4:5], s[0:1], v7, v4, 0
	v_add_co_u32_e32 v4, vcc, v9, v4
	v_addc_co_u32_e32 v4, vcc, v10, v5, vcc
	v_addc_co_u32_e32 v3, vcc, 0, v3, vcc
	v_add_co_u32_e32 v4, vcc, v4, v2
	v_addc_co_u32_e32 v5, vcc, 0, v3, vcc
	v_mul_lo_u32 v9, s17, v4
	v_mul_lo_u32 v10, s16, v5
	v_mad_u64_u32 v[2:3], s[0:1], s16, v4, 0
	v_add3_u32 v3, v3, v10, v9
	v_sub_u32_e32 v9, v7, v3
	v_mov_b32_e32 v10, s17
	v_sub_co_u32_e32 v2, vcc, v8, v2
	v_subb_co_u32_e64 v8, s[0:1], v9, v10, vcc
	v_subrev_co_u32_e64 v9, s[0:1], s16, v2
	v_subbrev_co_u32_e64 v8, s[0:1], 0, v8, s[0:1]
	v_cmp_le_u32_e64 s[0:1], s17, v8
	v_cndmask_b32_e64 v10, 0, -1, s[0:1]
	v_cmp_le_u32_e64 s[0:1], s16, v9
	v_cndmask_b32_e64 v9, 0, -1, s[0:1]
	v_cmp_eq_u32_e64 s[0:1], s17, v8
	v_cndmask_b32_e64 v8, v10, v9, s[0:1]
	v_add_co_u32_e64 v9, s[0:1], 2, v4
	v_subb_co_u32_e32 v3, vcc, v7, v3, vcc
	v_addc_co_u32_e64 v10, s[0:1], 0, v5, s[0:1]
	v_cmp_le_u32_e32 vcc, s17, v3
	v_add_co_u32_e64 v11, s[0:1], 1, v4
	v_cndmask_b32_e64 v7, 0, -1, vcc
	v_cmp_le_u32_e32 vcc, s16, v2
	v_addc_co_u32_e64 v12, s[0:1], 0, v5, s[0:1]
	v_cndmask_b32_e64 v2, 0, -1, vcc
	v_cmp_eq_u32_e32 vcc, s17, v3
	v_cmp_ne_u32_e64 s[0:1], 0, v8
	v_cndmask_b32_e32 v2, v7, v2, vcc
	v_cndmask_b32_e64 v8, v12, v10, s[0:1]
	v_cmp_ne_u32_e32 vcc, 0, v2
	v_cndmask_b32_e64 v3, v11, v9, s[0:1]
	v_cndmask_b32_e32 v2, v5, v8, vcc
	v_cndmask_b32_e32 v3, v4, v3, vcc
	v_xor_b32_e32 v5, s12, v6
	v_xor_b32_e32 v3, v3, v5
	;; [unrolled: 1-line block ×3, first 2 shown]
	v_sub_co_u32_e32 v4, vcc, v3, v5
	v_subb_co_u32_e32 v5, vcc, v2, v5, vcc
.LBB67_3:
	s_andn2_saveexec_b64 s[0:1], s[2:3]
	s_cbranch_execz .LBB67_5
; %bb.4:
	v_cvt_f32_u32_e32 v2, s10
	s_sub_i32 s2, 0, s10
	v_rcp_iflag_f32_e32 v2, v2
	v_mul_f32_e32 v2, 0x4f7ffffe, v2
	v_cvt_u32_f32_e32 v2, v2
	v_mul_lo_u32 v3, s2, v2
	v_mul_hi_u32 v3, v2, v3
	v_add_u32_e32 v2, v2, v3
	v_mul_hi_u32 v2, v0, v2
	v_mul_lo_u32 v3, v2, s10
	v_sub_u32_e32 v3, v0, v3
	v_add_u32_e32 v4, 1, v2
	v_subrev_u32_e32 v5, s10, v3
	v_cmp_le_u32_e32 vcc, s10, v3
	v_cndmask_b32_e32 v3, v3, v5, vcc
	v_cndmask_b32_e32 v2, v2, v4, vcc
	v_add_u32_e32 v4, 1, v2
	v_cmp_le_u32_e32 vcc, s10, v3
	v_cndmask_b32_e32 v4, v2, v4, vcc
	v_mov_b32_e32 v5, 0
.LBB67_5:
	s_or_b64 exec, exec, s[0:1]
	v_or_b32_e32 v3, s15, v5
	v_mov_b32_e32 v2, 0
	v_cmp_ne_u64_e32 vcc, 0, v[2:3]
                                        ; implicit-def: $vgpr2_vgpr3
	s_and_saveexec_b64 s[0:1], vcc
	s_xor_b64 s[12:13], exec, s[0:1]
	s_cbranch_execz .LBB67_7
; %bb.6:
	s_ashr_i32 s0, s15, 31
	s_add_u32 s2, s14, s0
	s_mov_b32 s1, s0
	s_addc_u32 s3, s15, s0
	s_xor_b64 s[16:17], s[2:3], s[0:1]
	v_cvt_f32_u32_e32 v2, s16
	v_cvt_f32_u32_e32 v3, s17
	s_sub_u32 s0, 0, s16
	s_subb_u32 s1, 0, s17
	v_madmk_f32 v2, v3, 0x4f800000, v2
	v_rcp_f32_e32 v2, v2
	v_mul_f32_e32 v2, 0x5f7ffffc, v2
	v_mul_f32_e32 v3, 0x2f800000, v2
	v_trunc_f32_e32 v3, v3
	v_madmk_f32 v2, v3, 0xcf800000, v2
	v_cvt_u32_f32_e32 v3, v3
	v_cvt_u32_f32_e32 v2, v2
	v_mul_lo_u32 v6, s0, v3
	v_mul_hi_u32 v8, s0, v2
	v_mul_lo_u32 v7, s1, v2
	v_add_u32_e32 v6, v8, v6
	v_mul_lo_u32 v9, s0, v2
	v_add_u32_e32 v6, v6, v7
	v_mul_lo_u32 v8, v2, v6
	v_mul_hi_u32 v10, v2, v9
	v_mul_hi_u32 v7, v2, v6
	v_add_co_u32_e32 v8, vcc, v10, v8
	v_addc_co_u32_e32 v7, vcc, 0, v7, vcc
	v_mul_hi_u32 v11, v3, v9
	v_mul_lo_u32 v9, v3, v9
	v_add_co_u32_e32 v8, vcc, v8, v9
	v_mul_hi_u32 v10, v3, v6
	v_addc_co_u32_e32 v7, vcc, v7, v11, vcc
	v_addc_co_u32_e32 v8, vcc, 0, v10, vcc
	v_mul_lo_u32 v6, v3, v6
	v_add_co_u32_e32 v6, vcc, v7, v6
	v_addc_co_u32_e32 v7, vcc, 0, v8, vcc
	v_add_co_u32_e32 v2, vcc, v2, v6
	v_addc_co_u32_e32 v3, vcc, v3, v7, vcc
	v_mul_lo_u32 v6, s0, v3
	v_mul_hi_u32 v7, s0, v2
	v_add_u32_e32 v6, v7, v6
	v_mul_lo_u32 v7, s1, v2
	v_add_u32_e32 v6, v6, v7
	v_mul_lo_u32 v8, s0, v2
	v_mul_hi_u32 v9, v3, v8
	v_mul_lo_u32 v10, v3, v8
	v_mul_lo_u32 v12, v2, v6
	v_mul_hi_u32 v8, v2, v8
	v_mul_hi_u32 v11, v2, v6
	v_add_co_u32_e32 v8, vcc, v8, v12
	v_addc_co_u32_e32 v11, vcc, 0, v11, vcc
	v_add_co_u32_e32 v8, vcc, v8, v10
	v_mul_hi_u32 v7, v3, v6
	v_addc_co_u32_e32 v8, vcc, v11, v9, vcc
	v_addc_co_u32_e32 v7, vcc, 0, v7, vcc
	v_mul_lo_u32 v6, v3, v6
	v_add_co_u32_e32 v6, vcc, v8, v6
	v_addc_co_u32_e32 v7, vcc, 0, v7, vcc
	v_add_co_u32_e32 v6, vcc, v2, v6
	v_addc_co_u32_e32 v7, vcc, v3, v7, vcc
	v_ashrrev_i32_e32 v8, 31, v5
	v_add_co_u32_e32 v2, vcc, v4, v8
	v_addc_co_u32_e32 v3, vcc, v5, v8, vcc
	v_xor_b32_e32 v10, v2, v8
	v_xor_b32_e32 v9, v3, v8
	v_mad_u64_u32 v[2:3], s[0:1], v10, v7, 0
	v_mul_hi_u32 v11, v10, v6
	v_add_co_u32_e32 v11, vcc, v11, v2
	v_addc_co_u32_e32 v12, vcc, 0, v3, vcc
	v_mad_u64_u32 v[2:3], s[0:1], v9, v7, 0
	v_mad_u64_u32 v[6:7], s[0:1], v9, v6, 0
	v_add_co_u32_e32 v6, vcc, v11, v6
	v_addc_co_u32_e32 v6, vcc, v12, v7, vcc
	v_addc_co_u32_e32 v3, vcc, 0, v3, vcc
	v_add_co_u32_e32 v2, vcc, v6, v2
	v_addc_co_u32_e32 v3, vcc, 0, v3, vcc
	v_mul_lo_u32 v6, s17, v2
	v_mul_lo_u32 v7, s16, v3
	v_mad_u64_u32 v[2:3], s[0:1], s16, v2, 0
	v_add3_u32 v3, v3, v7, v6
	v_sub_u32_e32 v6, v9, v3
	v_mov_b32_e32 v7, s17
	v_sub_co_u32_e32 v2, vcc, v10, v2
	v_subb_co_u32_e64 v6, s[0:1], v6, v7, vcc
	v_subrev_co_u32_e64 v10, s[0:1], s16, v2
	v_subbrev_co_u32_e64 v11, s[2:3], 0, v6, s[0:1]
	v_cmp_le_u32_e64 s[2:3], s17, v11
	v_cndmask_b32_e64 v12, 0, -1, s[2:3]
	v_cmp_le_u32_e64 s[2:3], s16, v10
	v_subb_co_u32_e64 v6, s[0:1], v6, v7, s[0:1]
	v_cndmask_b32_e64 v13, 0, -1, s[2:3]
	v_cmp_eq_u32_e64 s[2:3], s17, v11
	v_subrev_co_u32_e64 v7, s[0:1], s16, v10
	v_subb_co_u32_e32 v3, vcc, v9, v3, vcc
	v_cndmask_b32_e64 v12, v12, v13, s[2:3]
	v_subbrev_co_u32_e64 v6, s[0:1], 0, v6, s[0:1]
	v_cmp_le_u32_e32 vcc, s17, v3
	v_cmp_ne_u32_e64 s[0:1], 0, v12
	v_cndmask_b32_e64 v9, 0, -1, vcc
	v_cmp_le_u32_e32 vcc, s16, v2
	v_cndmask_b32_e64 v6, v11, v6, s[0:1]
	v_cndmask_b32_e64 v11, 0, -1, vcc
	v_cmp_eq_u32_e32 vcc, s17, v3
	v_cndmask_b32_e32 v9, v9, v11, vcc
	v_cmp_ne_u32_e32 vcc, 0, v9
	v_cndmask_b32_e32 v3, v3, v6, vcc
	v_cndmask_b32_e64 v6, v10, v7, s[0:1]
	v_cndmask_b32_e32 v2, v2, v6, vcc
	v_xor_b32_e32 v2, v2, v8
	v_xor_b32_e32 v3, v3, v8
	v_sub_co_u32_e32 v2, vcc, v2, v8
	v_subb_co_u32_e32 v3, vcc, v3, v8, vcc
.LBB67_7:
	s_or_saveexec_b64 s[0:1], s[12:13]
	s_load_dwordx2 s[2:3], s[4:5], 0xa8
	s_load_dwordx8 s[36:43], s[4:5], 0x88
	s_xor_b64 exec, exec, s[0:1]
	s_cbranch_execz .LBB67_9
; %bb.8:
	v_cvt_f32_u32_e32 v2, s14
	s_sub_i32 s12, 0, s14
	v_rcp_iflag_f32_e32 v2, v2
	v_mul_f32_e32 v2, 0x4f7ffffe, v2
	v_cvt_u32_f32_e32 v2, v2
	v_mul_lo_u32 v3, s12, v2
	v_mul_hi_u32 v3, v2, v3
	v_add_u32_e32 v2, v2, v3
	v_mul_hi_u32 v2, v4, v2
	v_mul_lo_u32 v2, v2, s14
	v_sub_u32_e32 v2, v4, v2
	v_subrev_u32_e32 v3, s14, v2
	v_cmp_le_u32_e32 vcc, s14, v2
	v_cndmask_b32_e32 v2, v2, v3, vcc
	v_subrev_u32_e32 v3, s14, v2
	v_cmp_le_u32_e32 vcc, s14, v2
	v_cndmask_b32_e32 v2, v2, v3, vcc
	v_mov_b32_e32 v3, 0
.LBB67_9:
	s_or_b64 exec, exec, s[0:1]
	s_load_dwordx2 s[28:29], s[4:5], 0x58
	s_load_dwordx2 s[30:31], s[4:5], 0x0
	v_or_b32_e32 v7, s9, v1
	v_mov_b32_e32 v6, 0
	v_cmp_ne_u64_e32 vcc, 0, v[6:7]
                                        ; implicit-def: $vgpr6_vgpr7
	s_and_saveexec_b64 s[0:1], vcc
	s_xor_b64 s[12:13], exec, s[0:1]
	s_cbranch_execz .LBB67_11
; %bb.10:
	s_ashr_i32 s14, s9, 31
	s_add_u32 s0, s6, s14
	s_mov_b32 s15, s14
	s_addc_u32 s1, s9, s14
	s_xor_b64 s[16:17], s[0:1], s[14:15]
	v_cvt_f32_u32_e32 v6, s16
	v_cvt_f32_u32_e32 v7, s17
	s_sub_u32 s0, 0, s16
	s_subb_u32 s1, 0, s17
	v_madmk_f32 v6, v7, 0x4f800000, v6
	v_rcp_f32_e32 v6, v6
	v_mul_f32_e32 v6, 0x5f7ffffc, v6
	v_mul_f32_e32 v7, 0x2f800000, v6
	v_trunc_f32_e32 v7, v7
	v_madmk_f32 v6, v7, 0xcf800000, v6
	v_cvt_u32_f32_e32 v7, v7
	v_cvt_u32_f32_e32 v6, v6
	v_mul_lo_u32 v8, s0, v7
	v_mul_hi_u32 v10, s0, v6
	v_mul_lo_u32 v9, s1, v6
	v_add_u32_e32 v8, v10, v8
	v_mul_lo_u32 v11, s0, v6
	v_add_u32_e32 v8, v8, v9
	v_mul_lo_u32 v10, v6, v8
	v_mul_hi_u32 v12, v6, v11
	v_mul_hi_u32 v9, v6, v8
	v_add_co_u32_e32 v10, vcc, v12, v10
	v_addc_co_u32_e32 v9, vcc, 0, v9, vcc
	v_mul_hi_u32 v13, v7, v11
	v_mul_lo_u32 v11, v7, v11
	v_add_co_u32_e32 v10, vcc, v10, v11
	v_mul_hi_u32 v12, v7, v8
	v_addc_co_u32_e32 v9, vcc, v9, v13, vcc
	v_addc_co_u32_e32 v10, vcc, 0, v12, vcc
	v_mul_lo_u32 v8, v7, v8
	v_add_co_u32_e32 v8, vcc, v9, v8
	v_addc_co_u32_e32 v9, vcc, 0, v10, vcc
	v_add_co_u32_e32 v6, vcc, v6, v8
	v_addc_co_u32_e32 v7, vcc, v7, v9, vcc
	v_mul_lo_u32 v8, s0, v7
	v_mul_hi_u32 v9, s0, v6
	v_add_u32_e32 v8, v9, v8
	v_mul_lo_u32 v9, s1, v6
	v_add_u32_e32 v8, v8, v9
	v_mul_lo_u32 v10, s0, v6
	v_mul_hi_u32 v11, v7, v10
	v_mul_lo_u32 v12, v7, v10
	v_mul_lo_u32 v14, v6, v8
	v_mul_hi_u32 v10, v6, v10
	v_mul_hi_u32 v13, v6, v8
	v_add_co_u32_e32 v10, vcc, v10, v14
	v_addc_co_u32_e32 v13, vcc, 0, v13, vcc
	v_add_co_u32_e32 v10, vcc, v10, v12
	v_mul_hi_u32 v9, v7, v8
	v_addc_co_u32_e32 v10, vcc, v13, v11, vcc
	v_addc_co_u32_e32 v9, vcc, 0, v9, vcc
	v_mul_lo_u32 v8, v7, v8
	v_add_co_u32_e32 v8, vcc, v10, v8
	v_addc_co_u32_e32 v9, vcc, 0, v9, vcc
	v_add_co_u32_e32 v8, vcc, v6, v8
	v_addc_co_u32_e32 v9, vcc, v7, v9, vcc
	v_ashrrev_i32_e32 v10, 31, v1
	v_add_co_u32_e32 v6, vcc, v0, v10
	v_addc_co_u32_e32 v7, vcc, v1, v10, vcc
	v_xor_b32_e32 v12, v6, v10
	v_xor_b32_e32 v11, v7, v10
	v_mad_u64_u32 v[6:7], s[0:1], v12, v9, 0
	v_mul_hi_u32 v13, v12, v8
	v_add_co_u32_e32 v13, vcc, v13, v6
	v_addc_co_u32_e32 v14, vcc, 0, v7, vcc
	v_mad_u64_u32 v[6:7], s[0:1], v11, v9, 0
	v_mad_u64_u32 v[8:9], s[0:1], v11, v8, 0
	v_add_co_u32_e32 v8, vcc, v13, v8
	v_addc_co_u32_e32 v8, vcc, v14, v9, vcc
	v_addc_co_u32_e32 v7, vcc, 0, v7, vcc
	v_add_co_u32_e32 v8, vcc, v8, v6
	v_addc_co_u32_e32 v9, vcc, 0, v7, vcc
	v_mul_lo_u32 v13, s17, v8
	v_mul_lo_u32 v14, s16, v9
	v_mad_u64_u32 v[6:7], s[0:1], s16, v8, 0
	v_add3_u32 v7, v7, v14, v13
	v_sub_u32_e32 v13, v11, v7
	v_mov_b32_e32 v14, s17
	v_sub_co_u32_e32 v6, vcc, v12, v6
	v_subb_co_u32_e64 v12, s[0:1], v13, v14, vcc
	v_subrev_co_u32_e64 v13, s[0:1], s16, v6
	v_subbrev_co_u32_e64 v12, s[0:1], 0, v12, s[0:1]
	v_cmp_le_u32_e64 s[0:1], s17, v12
	v_cndmask_b32_e64 v14, 0, -1, s[0:1]
	v_cmp_le_u32_e64 s[0:1], s16, v13
	v_cndmask_b32_e64 v13, 0, -1, s[0:1]
	v_cmp_eq_u32_e64 s[0:1], s17, v12
	v_cndmask_b32_e64 v12, v14, v13, s[0:1]
	v_add_co_u32_e64 v13, s[0:1], 2, v8
	v_subb_co_u32_e32 v7, vcc, v11, v7, vcc
	v_addc_co_u32_e64 v14, s[0:1], 0, v9, s[0:1]
	v_cmp_le_u32_e32 vcc, s17, v7
	v_add_co_u32_e64 v15, s[0:1], 1, v8
	v_cndmask_b32_e64 v11, 0, -1, vcc
	v_cmp_le_u32_e32 vcc, s16, v6
	v_addc_co_u32_e64 v16, s[0:1], 0, v9, s[0:1]
	v_cndmask_b32_e64 v6, 0, -1, vcc
	v_cmp_eq_u32_e32 vcc, s17, v7
	v_cmp_ne_u32_e64 s[0:1], 0, v12
	v_cndmask_b32_e32 v6, v11, v6, vcc
	v_cndmask_b32_e64 v12, v16, v14, s[0:1]
	v_cmp_ne_u32_e32 vcc, 0, v6
	v_cndmask_b32_e64 v7, v15, v13, s[0:1]
	v_cndmask_b32_e32 v6, v9, v12, vcc
	v_cndmask_b32_e32 v7, v8, v7, vcc
	v_xor_b32_e32 v8, s14, v10
	v_xor_b32_e32 v9, v6, v8
	;; [unrolled: 1-line block ×3, first 2 shown]
	v_sub_co_u32_e32 v6, vcc, v6, v8
	v_subb_co_u32_e32 v7, vcc, v9, v8, vcc
.LBB67_11:
	s_or_saveexec_b64 s[0:1], s[12:13]
	s_load_dwordx16 s[12:27], s[4:5], 0x18
	s_xor_b64 exec, exec, s[0:1]
	s_cbranch_execz .LBB67_13
; %bb.12:
	v_cvt_f32_u32_e32 v6, s6
	s_sub_i32 s9, 0, s6
	v_rcp_iflag_f32_e32 v6, v6
	v_mul_f32_e32 v6, 0x4f7ffffe, v6
	v_cvt_u32_f32_e32 v6, v6
	v_mul_lo_u32 v7, s9, v6
	v_mul_hi_u32 v7, v6, v7
	v_add_u32_e32 v6, v6, v7
	v_mul_hi_u32 v6, v0, v6
	v_mul_lo_u32 v7, v6, s6
	v_sub_u32_e32 v7, v0, v7
	v_add_u32_e32 v8, 1, v6
	v_subrev_u32_e32 v9, s6, v7
	v_cmp_le_u32_e32 vcc, s6, v7
	v_cndmask_b32_e32 v7, v7, v9, vcc
	v_cndmask_b32_e32 v6, v6, v8, vcc
	v_add_u32_e32 v8, 1, v6
	v_cmp_le_u32_e32 vcc, s6, v7
	v_cndmask_b32_e32 v6, v6, v8, vcc
	v_mov_b32_e32 v7, 0
.LBB67_13:
	s_or_b64 exec, exec, s[0:1]
	s_load_dwordx8 s[44:51], s[4:5], 0xb0
	v_mul_lo_u32 v8, v5, s10
	v_mul_lo_u32 v9, v4, s11
	v_mad_u64_u32 v[4:5], s[0:1], v4, s10, 0
	s_load_dwordx2 s[0:1], s[4:5], 0xd0
	s_waitcnt lgkmcnt(0)
	s_sub_u32 s4, 0, s44
	s_subb_u32 s5, 0, s45
	s_sub_u32 s10, 0, s46
	s_subb_u32 s11, 0, s47
	;; [unrolled: 2-line block ×3, first 2 shown]
	v_cmp_gt_i64_e64 s[52:53], s[4:5], 0
	s_and_b64 s[52:53], s[52:53], exec
	s_cselect_b32 s6, s5, 0
	s_cselect_b32 s9, s4, 0
	v_cmp_gt_i64_e64 s[4:5], s[44:45], 0
	s_and_b64 s[4:5], s[4:5], exec
	v_cmp_gt_i64_e64 s[4:5], s[10:11], 0
	s_cselect_b32 s53, s45, 0
	s_cselect_b32 s52, s44, 0
	s_and_b64 s[4:5], s[4:5], exec
	v_add3_u32 v5, v5, v9, v8
	v_sub_co_u32_e32 v0, vcc, v0, v4
	v_cmp_gt_i64_e64 s[4:5], s[46:47], 0
	v_subb_co_u32_e32 v1, vcc, v1, v5, vcc
	s_cselect_b32 s33, s11, 0
	s_cselect_b32 s54, s10, 0
	s_and_b64 s[4:5], s[4:5], exec
	v_cmp_gt_i64_e64 s[4:5], s[34:35], 0
	v_mov_b32_e32 v5, s45
	v_subrev_co_u32_e32 v4, vcc, s44, v0
	s_cselect_b32 s11, s47, 0
	s_cselect_b32 s10, s46, 0
	s_and_b64 s[4:5], s[4:5], exec
	v_subb_co_u32_e32 v5, vcc, v1, v5, vcc
	v_cmp_gt_i64_e64 s[4:5], s[48:49], 0
	v_ashrrev_i32_e32 v8, 31, v5
	s_cselect_b32 s55, s35, 0
	s_cselect_b32 s56, s34, 0
	s_and_b64 s[4:5], s[4:5], exec
	v_xor_b32_e32 v4, v4, v8
	s_cselect_b32 s5, s49, 0
	s_cselect_b32 s4, s48, 0
	v_xor_b32_e32 v5, v5, v8
	v_sub_co_u32_e32 v9, vcc, v4, v8
	s_add_u32 s34, s16, s44
	v_subb_co_u32_e32 v8, vcc, v5, v8, vcc
	s_addc_u32 s35, s17, s45
	v_mov_b32_e32 v5, s35
	v_subrev_co_u32_e32 v4, vcc, s34, v0
	v_subb_co_u32_e32 v5, vcc, v1, v5, vcc
	v_add_co_u32_e32 v4, vcc, 1, v4
	v_addc_co_u32_e32 v5, vcc, 0, v5, vcc
	s_lshl_b64 s[34:35], s[44:45], 1
	s_not_b64 s[44:45], s[52:53]
	v_ashrrev_i32_e32 v10, 31, v5
	s_add_u32 s34, s34, s44
	v_xor_b32_e32 v4, v4, v10
	s_addc_u32 s35, s35, s45
	v_xor_b32_e32 v5, v5, v10
	v_sub_co_u32_e32 v4, vcc, v4, v10
	s_add_u32 s9, s34, s9
	v_subb_co_u32_e32 v5, vcc, v5, v10, vcc
	s_addc_u32 s6, s35, s6
	s_add_u32 s9, s9, s16
	v_add_co_u32_e32 v4, vcc, v0, v4
	s_addc_u32 s6, s6, s17
	v_addc_co_u32_e32 v5, vcc, v1, v5, vcc
	v_mov_b32_e32 v10, s6
	v_sub_co_u32_e32 v4, vcc, s9, v4
	v_subb_co_u32_e32 v5, vcc, v10, v5, vcc
	v_add_co_u32_e32 v9, vcc, v4, v9
	v_addc_co_u32_e32 v8, vcc, v5, v8, vcc
	v_mov_b32_e32 v4, s47
	v_subrev_co_u32_e32 v5, vcc, s46, v2
	v_subb_co_u32_e32 v4, vcc, v3, v4, vcc
	v_ashrrev_i32_e32 v10, 31, v4
	v_xor_b32_e32 v5, v5, v10
	v_xor_b32_e32 v4, v4, v10
	v_sub_co_u32_e32 v5, vcc, v5, v10
	s_add_u32 s6, s14, s46
	v_subb_co_u32_e32 v4, vcc, v4, v10, vcc
	s_addc_u32 s9, s15, s47
	v_mov_b32_e32 v10, s9
	v_subrev_co_u32_e32 v11, vcc, s6, v2
	v_subb_co_u32_e32 v10, vcc, v3, v10, vcc
	v_add_co_u32_e32 v11, vcc, 1, v11
	v_addc_co_u32_e32 v10, vcc, 0, v10, vcc
	s_lshl_b64 s[16:17], s[46:47], 1
	s_not_b64 s[10:11], s[10:11]
	v_ashrrev_i32_e32 v12, 31, v10
	s_add_u32 s6, s16, s10
	v_xor_b32_e32 v11, v11, v12
	s_addc_u32 s9, s17, s11
	v_xor_b32_e32 v10, v10, v12
	v_sub_co_u32_e32 v11, vcc, v11, v12
	s_add_u32 s6, s6, s54
	v_subb_co_u32_e32 v10, vcc, v10, v12, vcc
	s_addc_u32 s9, s9, s33
	s_add_u32 s6, s6, s14
	v_add_co_u32_e32 v11, vcc, v2, v11
	s_addc_u32 s9, s9, s15
	v_addc_co_u32_e32 v10, vcc, v3, v10, vcc
	v_mov_b32_e32 v12, s9
	v_sub_co_u32_e32 v11, vcc, s6, v11
	v_subb_co_u32_e32 v10, vcc, v12, v10, vcc
	v_add_co_u32_e32 v11, vcc, v11, v5
	v_addc_co_u32_e32 v10, vcc, v10, v4, vcc
	v_mov_b32_e32 v4, s49
	v_subrev_co_u32_e32 v5, vcc, s48, v6
	v_subb_co_u32_e32 v4, vcc, v7, v4, vcc
	v_ashrrev_i32_e32 v12, 31, v4
	v_xor_b32_e32 v5, v5, v12
	v_xor_b32_e32 v4, v4, v12
	v_sub_co_u32_e32 v5, vcc, v5, v12
	s_add_u32 s6, s12, s48
	v_subb_co_u32_e32 v4, vcc, v4, v12, vcc
	s_addc_u32 s9, s13, s49
	v_mov_b32_e32 v12, s9
	v_subrev_co_u32_e32 v13, vcc, s6, v6
	v_subb_co_u32_e32 v12, vcc, v7, v12, vcc
	v_add_co_u32_e32 v13, vcc, 1, v13
	v_addc_co_u32_e32 v12, vcc, 0, v12, vcc
	s_lshl_b64 s[10:11], s[48:49], 1
	s_not_b64 s[4:5], s[4:5]
	v_ashrrev_i32_e32 v14, 31, v12
	s_add_u32 s4, s10, s4
	v_xor_b32_e32 v13, v13, v14
	s_addc_u32 s5, s11, s5
	v_xor_b32_e32 v12, v12, v14
	v_sub_co_u32_e32 v13, vcc, v13, v14
	s_add_u32 s4, s4, s56
	v_subb_co_u32_e32 v12, vcc, v12, v14, vcc
	s_addc_u32 s5, s5, s55
	s_add_u32 s4, s4, s12
	v_add_co_u32_e32 v13, vcc, v6, v13
	s_addc_u32 s5, s5, s13
	v_addc_co_u32_e32 v12, vcc, v7, v12, vcc
	v_sub_co_u32_e32 v13, vcc, s4, v13
	s_add_u32 s4, s7, s50
	v_mov_b32_e32 v14, s5
	s_addc_u32 s5, 0, s51
	s_add_u32 s6, s8, s0
	s_addc_u32 s7, 0, s1
	s_mul_i32 s0, s18, s7
	s_mul_hi_u32 s1, s18, s6
	s_add_i32 s0, s1, s0
	s_mul_i32 s1, s19, s6
	s_add_i32 s1, s0, s1
	s_mul_i32 s0, s18, s6
	s_lshl_b64 s[0:1], s[0:1], 1
	s_add_u32 s8, s30, s0
	s_addc_u32 s9, s31, s1
	s_mul_i32 s0, s20, s5
	s_mul_hi_u32 s1, s20, s4
	s_add_i32 s0, s1, s0
	s_mul_i32 s1, s21, s4
	v_subb_co_u32_e32 v12, vcc, v14, v12, vcc
	s_add_i32 s1, s0, s1
	s_mul_i32 s0, s20, s4
	v_add_co_u32_e32 v5, vcc, v13, v5
	s_lshl_b64 s[0:1], s[0:1], 1
	v_addc_co_u32_e32 v4, vcc, v12, v4, vcc
	s_add_u32 s8, s8, s0
	s_addc_u32 s9, s9, s1
	v_mul_lo_u32 v12, v4, s22
	v_mul_lo_u32 v13, v5, s23
	v_mad_u64_u32 v[4:5], s[0:1], v5, s22, 0
	v_add3_u32 v5, v5, v13, v12
	v_lshlrev_b64 v[4:5], 1, v[4:5]
	v_mov_b32_e32 v12, s9
	v_add_co_u32_e32 v13, vcc, s8, v4
	v_addc_co_u32_e32 v12, vcc, v12, v5, vcc
	v_mul_lo_u32 v10, v10, s24
	v_mul_lo_u32 v14, v11, s25
	v_mad_u64_u32 v[4:5], s[0:1], v11, s24, 0
	v_add3_u32 v5, v5, v14, v10
	v_lshlrev_b64 v[4:5], 1, v[4:5]
	v_add_co_u32_e32 v10, vcc, v13, v4
	v_addc_co_u32_e32 v11, vcc, v12, v5, vcc
	v_mul_lo_u32 v8, v8, s26
	v_mul_lo_u32 v12, v9, s27
	v_mad_u64_u32 v[4:5], s[0:1], v9, s26, 0
	v_add3_u32 v5, v5, v12, v8
	v_lshlrev_b64 v[4:5], 1, v[4:5]
	v_add_co_u32_e32 v4, vcc, v10, v4
	v_addc_co_u32_e32 v5, vcc, v11, v5, vcc
	global_load_ushort v8, v[4:5], off
	s_mul_i32 s0, s36, s7
	s_mul_hi_u32 s1, s36, s6
	s_add_i32 s0, s1, s0
	s_mul_i32 s1, s37, s6
	s_add_i32 s1, s0, s1
	s_mul_i32 s0, s36, s6
	s_lshl_b64 s[0:1], s[0:1], 1
	s_add_u32 s6, s28, s0
	s_addc_u32 s7, s29, s1
	s_mul_i32 s0, s38, s5
	s_mul_hi_u32 s1, s38, s4
	s_add_i32 s0, s1, s0
	s_mul_i32 s1, s39, s4
	s_add_i32 s1, s0, s1
	s_mul_i32 s0, s38, s4
	s_lshl_b64 s[0:1], s[0:1], 1
	s_add_u32 s4, s6, s0
	s_addc_u32 s5, s7, s1
	v_mul_lo_u32 v7, v7, s40
	v_mul_lo_u32 v9, v6, s41
	v_mad_u64_u32 v[4:5], s[0:1], v6, s40, 0
	v_add3_u32 v5, v5, v9, v7
	v_lshlrev_b64 v[4:5], 1, v[4:5]
	v_mov_b32_e32 v6, s5
	v_add_co_u32_e32 v4, vcc, s4, v4
	v_addc_co_u32_e32 v5, vcc, v6, v5, vcc
	v_mul_lo_u32 v6, v3, s42
	v_mul_lo_u32 v7, v2, s43
	v_mad_u64_u32 v[2:3], s[0:1], v2, s42, 0
	v_add3_u32 v3, v3, v7, v6
	v_lshlrev_b64 v[2:3], 1, v[2:3]
	v_add_co_u32_e32 v2, vcc, v4, v2
	v_addc_co_u32_e32 v3, vcc, v5, v3, vcc
	v_mul_lo_u32 v4, v1, s2
	v_mul_lo_u32 v5, v0, s3
	v_mad_u64_u32 v[0:1], s[0:1], v0, s2, 0
	v_add3_u32 v1, v1, v5, v4
	v_lshlrev_b64 v[0:1], 1, v[0:1]
	v_add_co_u32_e32 v0, vcc, v2, v0
	v_addc_co_u32_e32 v1, vcc, v3, v1, vcc
	s_waitcnt vmcnt(0)
	global_store_short v[0:1], v8, off
.LBB67_14:
	s_endpgm
	.section	.rodata,"a",@progbits
	.p2align	6, 0x0
	.amdhsa_kernel _ZN2at6native12_GLOBAL__N_127reflection_pad3d_out_kernelIN3c108BFloat16EEEvN5torch10headeronly6detail27GenericPackedTensorAccessorINS7_14TensorAccessorINS3_8ArrayRefIlEEKT_Lm4ENS6_16DefaultPtrTraitsElEENS_6detail16IndexBoundsCheckILm5ElEESD_Lm5ESE_lEENS8_INS9_ISB_SC_Lm4ESE_lEESI_SC_Lm5ESE_lEElllll
		.amdhsa_group_segment_fixed_size 0
		.amdhsa_private_segment_fixed_size 0
		.amdhsa_kernarg_size 472
		.amdhsa_user_sgpr_count 6
		.amdhsa_user_sgpr_private_segment_buffer 1
		.amdhsa_user_sgpr_dispatch_ptr 0
		.amdhsa_user_sgpr_queue_ptr 0
		.amdhsa_user_sgpr_kernarg_segment_ptr 1
		.amdhsa_user_sgpr_dispatch_id 0
		.amdhsa_user_sgpr_flat_scratch_init 0
		.amdhsa_user_sgpr_kernarg_preload_length 0
		.amdhsa_user_sgpr_kernarg_preload_offset 0
		.amdhsa_user_sgpr_private_segment_size 0
		.amdhsa_uses_dynamic_stack 0
		.amdhsa_system_sgpr_private_segment_wavefront_offset 0
		.amdhsa_system_sgpr_workgroup_id_x 1
		.amdhsa_system_sgpr_workgroup_id_y 1
		.amdhsa_system_sgpr_workgroup_id_z 1
		.amdhsa_system_sgpr_workgroup_info 0
		.amdhsa_system_vgpr_workitem_id 0
		.amdhsa_next_free_vgpr 17
		.amdhsa_next_free_sgpr 57
		.amdhsa_accum_offset 20
		.amdhsa_reserve_vcc 1
		.amdhsa_reserve_flat_scratch 0
		.amdhsa_float_round_mode_32 0
		.amdhsa_float_round_mode_16_64 0
		.amdhsa_float_denorm_mode_32 3
		.amdhsa_float_denorm_mode_16_64 3
		.amdhsa_dx10_clamp 1
		.amdhsa_ieee_mode 1
		.amdhsa_fp16_overflow 0
		.amdhsa_tg_split 0
		.amdhsa_exception_fp_ieee_invalid_op 0
		.amdhsa_exception_fp_denorm_src 0
		.amdhsa_exception_fp_ieee_div_zero 0
		.amdhsa_exception_fp_ieee_overflow 0
		.amdhsa_exception_fp_ieee_underflow 0
		.amdhsa_exception_fp_ieee_inexact 0
		.amdhsa_exception_int_div_zero 0
	.end_amdhsa_kernel
	.section	.text._ZN2at6native12_GLOBAL__N_127reflection_pad3d_out_kernelIN3c108BFloat16EEEvN5torch10headeronly6detail27GenericPackedTensorAccessorINS7_14TensorAccessorINS3_8ArrayRefIlEEKT_Lm4ENS6_16DefaultPtrTraitsElEENS_6detail16IndexBoundsCheckILm5ElEESD_Lm5ESE_lEENS8_INS9_ISB_SC_Lm4ESE_lEESI_SC_Lm5ESE_lEElllll,"axG",@progbits,_ZN2at6native12_GLOBAL__N_127reflection_pad3d_out_kernelIN3c108BFloat16EEEvN5torch10headeronly6detail27GenericPackedTensorAccessorINS7_14TensorAccessorINS3_8ArrayRefIlEEKT_Lm4ENS6_16DefaultPtrTraitsElEENS_6detail16IndexBoundsCheckILm5ElEESD_Lm5ESE_lEENS8_INS9_ISB_SC_Lm4ESE_lEESI_SC_Lm5ESE_lEElllll,comdat
.Lfunc_end67:
	.size	_ZN2at6native12_GLOBAL__N_127reflection_pad3d_out_kernelIN3c108BFloat16EEEvN5torch10headeronly6detail27GenericPackedTensorAccessorINS7_14TensorAccessorINS3_8ArrayRefIlEEKT_Lm4ENS6_16DefaultPtrTraitsElEENS_6detail16IndexBoundsCheckILm5ElEESD_Lm5ESE_lEENS8_INS9_ISB_SC_Lm4ESE_lEESI_SC_Lm5ESE_lEElllll, .Lfunc_end67-_ZN2at6native12_GLOBAL__N_127reflection_pad3d_out_kernelIN3c108BFloat16EEEvN5torch10headeronly6detail27GenericPackedTensorAccessorINS7_14TensorAccessorINS3_8ArrayRefIlEEKT_Lm4ENS6_16DefaultPtrTraitsElEENS_6detail16IndexBoundsCheckILm5ElEESD_Lm5ESE_lEENS8_INS9_ISB_SC_Lm4ESE_lEESI_SC_Lm5ESE_lEElllll
                                        ; -- End function
	.section	.AMDGPU.csdata,"",@progbits
; Kernel info:
; codeLenInByte = 3680
; NumSgprs: 61
; NumVgprs: 17
; NumAgprs: 0
; TotalNumVgprs: 17
; ScratchSize: 0
; MemoryBound: 0
; FloatMode: 240
; IeeeMode: 1
; LDSByteSize: 0 bytes/workgroup (compile time only)
; SGPRBlocks: 7
; VGPRBlocks: 2
; NumSGPRsForWavesPerEU: 61
; NumVGPRsForWavesPerEU: 17
; AccumOffset: 20
; Occupancy: 8
; WaveLimiterHint : 0
; COMPUTE_PGM_RSRC2:SCRATCH_EN: 0
; COMPUTE_PGM_RSRC2:USER_SGPR: 6
; COMPUTE_PGM_RSRC2:TRAP_HANDLER: 0
; COMPUTE_PGM_RSRC2:TGID_X_EN: 1
; COMPUTE_PGM_RSRC2:TGID_Y_EN: 1
; COMPUTE_PGM_RSRC2:TGID_Z_EN: 1
; COMPUTE_PGM_RSRC2:TIDIG_COMP_CNT: 0
; COMPUTE_PGM_RSRC3_GFX90A:ACCUM_OFFSET: 4
; COMPUTE_PGM_RSRC3_GFX90A:TG_SPLIT: 0
	.section	.text._ZN2at6native12_GLOBAL__N_136reflection_pad3d_backward_out_kernelIdEEvN5torch10headeronly6detail27GenericPackedTensorAccessorINS5_14TensorAccessorIN3c108ArrayRefIlEET_Lm4ENS4_16DefaultPtrTraitsElEENS_6detail16IndexBoundsCheckILm5ElEESB_Lm5ESC_lEENS6_INS7_ISA_KSB_Lm4ESC_lEESG_SI_Lm5ESC_lEElllll,"axG",@progbits,_ZN2at6native12_GLOBAL__N_136reflection_pad3d_backward_out_kernelIdEEvN5torch10headeronly6detail27GenericPackedTensorAccessorINS5_14TensorAccessorIN3c108ArrayRefIlEET_Lm4ENS4_16DefaultPtrTraitsElEENS_6detail16IndexBoundsCheckILm5ElEESB_Lm5ESC_lEENS6_INS7_ISA_KSB_Lm4ESC_lEESG_SI_Lm5ESC_lEElllll,comdat
	.globl	_ZN2at6native12_GLOBAL__N_136reflection_pad3d_backward_out_kernelIdEEvN5torch10headeronly6detail27GenericPackedTensorAccessorINS5_14TensorAccessorIN3c108ArrayRefIlEET_Lm4ENS4_16DefaultPtrTraitsElEENS_6detail16IndexBoundsCheckILm5ElEESB_Lm5ESC_lEENS6_INS7_ISA_KSB_Lm4ESC_lEESG_SI_Lm5ESC_lEElllll ; -- Begin function _ZN2at6native12_GLOBAL__N_136reflection_pad3d_backward_out_kernelIdEEvN5torch10headeronly6detail27GenericPackedTensorAccessorINS5_14TensorAccessorIN3c108ArrayRefIlEET_Lm4ENS4_16DefaultPtrTraitsElEENS_6detail16IndexBoundsCheckILm5ElEESB_Lm5ESC_lEENS6_INS7_ISA_KSB_Lm4ESC_lEESG_SI_Lm5ESC_lEElllll
	.p2align	8
	.type	_ZN2at6native12_GLOBAL__N_136reflection_pad3d_backward_out_kernelIdEEvN5torch10headeronly6detail27GenericPackedTensorAccessorINS5_14TensorAccessorIN3c108ArrayRefIlEET_Lm4ENS4_16DefaultPtrTraitsElEENS_6detail16IndexBoundsCheckILm5ElEESB_Lm5ESC_lEENS6_INS7_ISA_KSB_Lm4ESC_lEESG_SI_Lm5ESC_lEElllll,@function
_ZN2at6native12_GLOBAL__N_136reflection_pad3d_backward_out_kernelIdEEvN5torch10headeronly6detail27GenericPackedTensorAccessorINS5_14TensorAccessorIN3c108ArrayRefIlEET_Lm4ENS4_16DefaultPtrTraitsElEENS_6detail16IndexBoundsCheckILm5ElEESB_Lm5ESC_lEENS6_INS7_ISA_KSB_Lm4ESC_lEESG_SI_Lm5ESC_lEElllll: ; @_ZN2at6native12_GLOBAL__N_136reflection_pad3d_backward_out_kernelIdEEvN5torch10headeronly6detail27GenericPackedTensorAccessorINS5_14TensorAccessorIN3c108ArrayRefIlEET_Lm4ENS4_16DefaultPtrTraitsElEENS_6detail16IndexBoundsCheckILm5ElEESB_Lm5ESC_lEENS6_INS7_ISA_KSB_Lm4ESC_lEESG_SI_Lm5ESC_lEElllll
; %bb.0:
	s_load_dword s0, s[4:5], 0xe4
	s_load_dwordx4 s[12:15], s[4:5], 0x70
	s_load_dwordx2 s[10:11], s[4:5], 0x80
	v_mov_b32_e32 v2, 0
	v_mov_b32_e32 v1, v2
	s_waitcnt lgkmcnt(0)
	s_and_b32 s0, s0, 0xffff
	v_mov_b32_e32 v3, s6
	v_mad_u64_u32 v[0:1], s[0:1], s0, v3, v[0:1]
	s_mul_i32 s0, s10, s15
	s_mul_hi_u32 s1, s10, s14
	s_add_i32 s9, s1, s0
	s_mul_i32 s0, s11, s14
	s_mul_i32 s6, s10, s14
	s_add_i32 s9, s9, s0
	s_mul_i32 s0, s6, s13
	s_mul_hi_u32 s1, s6, s12
	s_add_i32 s0, s1, s0
	s_mul_i32 s1, s9, s12
	s_add_i32 s1, s0, s1
	s_mul_i32 s0, s6, s12
	v_cmp_gt_i64_e32 vcc, s[0:1], v[0:1]
	s_and_saveexec_b64 s[0:1], vcc
	s_cbranch_execz .LBB68_14
; %bb.1:
	v_or_b32_e32 v3, s11, v1
	v_cmp_ne_u64_e32 vcc, 0, v[2:3]
                                        ; implicit-def: $vgpr4_vgpr5
	s_and_saveexec_b64 s[0:1], vcc
	s_xor_b64 s[2:3], exec, s[0:1]
	s_cbranch_execz .LBB68_3
; %bb.2:
	s_ashr_i32 s12, s11, 31
	s_add_u32 s0, s10, s12
	s_mov_b32 s13, s12
	s_addc_u32 s1, s11, s12
	s_xor_b64 s[16:17], s[0:1], s[12:13]
	v_cvt_f32_u32_e32 v2, s16
	v_cvt_f32_u32_e32 v3, s17
	s_sub_u32 s0, 0, s16
	s_subb_u32 s1, 0, s17
	v_madmk_f32 v2, v3, 0x4f800000, v2
	v_rcp_f32_e32 v2, v2
	v_mul_f32_e32 v2, 0x5f7ffffc, v2
	v_mul_f32_e32 v3, 0x2f800000, v2
	v_trunc_f32_e32 v3, v3
	v_madmk_f32 v2, v3, 0xcf800000, v2
	v_cvt_u32_f32_e32 v3, v3
	v_cvt_u32_f32_e32 v2, v2
	v_mul_lo_u32 v4, s0, v3
	v_mul_hi_u32 v6, s0, v2
	v_mul_lo_u32 v5, s1, v2
	v_add_u32_e32 v4, v6, v4
	v_mul_lo_u32 v7, s0, v2
	v_add_u32_e32 v4, v4, v5
	v_mul_lo_u32 v6, v2, v4
	v_mul_hi_u32 v8, v2, v7
	v_mul_hi_u32 v5, v2, v4
	v_add_co_u32_e32 v6, vcc, v8, v6
	v_addc_co_u32_e32 v5, vcc, 0, v5, vcc
	v_mul_hi_u32 v9, v3, v7
	v_mul_lo_u32 v7, v3, v7
	v_add_co_u32_e32 v6, vcc, v6, v7
	v_mul_hi_u32 v8, v3, v4
	v_addc_co_u32_e32 v5, vcc, v5, v9, vcc
	v_addc_co_u32_e32 v6, vcc, 0, v8, vcc
	v_mul_lo_u32 v4, v3, v4
	v_add_co_u32_e32 v4, vcc, v5, v4
	v_addc_co_u32_e32 v5, vcc, 0, v6, vcc
	v_add_co_u32_e32 v2, vcc, v2, v4
	v_addc_co_u32_e32 v3, vcc, v3, v5, vcc
	v_mul_lo_u32 v4, s0, v3
	v_mul_hi_u32 v5, s0, v2
	v_add_u32_e32 v4, v5, v4
	v_mul_lo_u32 v5, s1, v2
	v_add_u32_e32 v4, v4, v5
	v_mul_lo_u32 v6, s0, v2
	v_mul_hi_u32 v7, v3, v6
	v_mul_lo_u32 v8, v3, v6
	v_mul_lo_u32 v10, v2, v4
	v_mul_hi_u32 v6, v2, v6
	v_mul_hi_u32 v9, v2, v4
	v_add_co_u32_e32 v6, vcc, v6, v10
	v_addc_co_u32_e32 v9, vcc, 0, v9, vcc
	v_add_co_u32_e32 v6, vcc, v6, v8
	v_mul_hi_u32 v5, v3, v4
	v_addc_co_u32_e32 v6, vcc, v9, v7, vcc
	v_addc_co_u32_e32 v5, vcc, 0, v5, vcc
	v_mul_lo_u32 v4, v3, v4
	v_add_co_u32_e32 v4, vcc, v6, v4
	v_addc_co_u32_e32 v5, vcc, 0, v5, vcc
	v_add_co_u32_e32 v4, vcc, v2, v4
	v_addc_co_u32_e32 v5, vcc, v3, v5, vcc
	v_ashrrev_i32_e32 v6, 31, v1
	v_add_co_u32_e32 v2, vcc, v0, v6
	v_addc_co_u32_e32 v3, vcc, v1, v6, vcc
	v_xor_b32_e32 v8, v2, v6
	v_xor_b32_e32 v7, v3, v6
	v_mad_u64_u32 v[2:3], s[0:1], v8, v5, 0
	v_mul_hi_u32 v9, v8, v4
	v_add_co_u32_e32 v9, vcc, v9, v2
	v_addc_co_u32_e32 v10, vcc, 0, v3, vcc
	v_mad_u64_u32 v[2:3], s[0:1], v7, v5, 0
	v_mad_u64_u32 v[4:5], s[0:1], v7, v4, 0
	v_add_co_u32_e32 v4, vcc, v9, v4
	v_addc_co_u32_e32 v4, vcc, v10, v5, vcc
	v_addc_co_u32_e32 v3, vcc, 0, v3, vcc
	v_add_co_u32_e32 v4, vcc, v4, v2
	v_addc_co_u32_e32 v5, vcc, 0, v3, vcc
	v_mul_lo_u32 v9, s17, v4
	v_mul_lo_u32 v10, s16, v5
	v_mad_u64_u32 v[2:3], s[0:1], s16, v4, 0
	v_add3_u32 v3, v3, v10, v9
	v_sub_u32_e32 v9, v7, v3
	v_mov_b32_e32 v10, s17
	v_sub_co_u32_e32 v2, vcc, v8, v2
	v_subb_co_u32_e64 v8, s[0:1], v9, v10, vcc
	v_subrev_co_u32_e64 v9, s[0:1], s16, v2
	v_subbrev_co_u32_e64 v8, s[0:1], 0, v8, s[0:1]
	v_cmp_le_u32_e64 s[0:1], s17, v8
	v_cndmask_b32_e64 v10, 0, -1, s[0:1]
	v_cmp_le_u32_e64 s[0:1], s16, v9
	v_cndmask_b32_e64 v9, 0, -1, s[0:1]
	v_cmp_eq_u32_e64 s[0:1], s17, v8
	v_cndmask_b32_e64 v8, v10, v9, s[0:1]
	v_add_co_u32_e64 v9, s[0:1], 2, v4
	v_subb_co_u32_e32 v3, vcc, v7, v3, vcc
	v_addc_co_u32_e64 v10, s[0:1], 0, v5, s[0:1]
	v_cmp_le_u32_e32 vcc, s17, v3
	v_add_co_u32_e64 v11, s[0:1], 1, v4
	v_cndmask_b32_e64 v7, 0, -1, vcc
	v_cmp_le_u32_e32 vcc, s16, v2
	v_addc_co_u32_e64 v12, s[0:1], 0, v5, s[0:1]
	v_cndmask_b32_e64 v2, 0, -1, vcc
	v_cmp_eq_u32_e32 vcc, s17, v3
	v_cmp_ne_u32_e64 s[0:1], 0, v8
	v_cndmask_b32_e32 v2, v7, v2, vcc
	v_cndmask_b32_e64 v8, v12, v10, s[0:1]
	v_cmp_ne_u32_e32 vcc, 0, v2
	v_cndmask_b32_e64 v3, v11, v9, s[0:1]
	v_cndmask_b32_e32 v2, v5, v8, vcc
	v_cndmask_b32_e32 v3, v4, v3, vcc
	v_xor_b32_e32 v5, s12, v6
	v_xor_b32_e32 v3, v3, v5
	;; [unrolled: 1-line block ×3, first 2 shown]
	v_sub_co_u32_e32 v4, vcc, v3, v5
	v_subb_co_u32_e32 v5, vcc, v2, v5, vcc
.LBB68_3:
	s_andn2_saveexec_b64 s[0:1], s[2:3]
	s_cbranch_execz .LBB68_5
; %bb.4:
	v_cvt_f32_u32_e32 v2, s10
	s_sub_i32 s2, 0, s10
	v_rcp_iflag_f32_e32 v2, v2
	v_mul_f32_e32 v2, 0x4f7ffffe, v2
	v_cvt_u32_f32_e32 v2, v2
	v_mul_lo_u32 v3, s2, v2
	v_mul_hi_u32 v3, v2, v3
	v_add_u32_e32 v2, v2, v3
	v_mul_hi_u32 v2, v0, v2
	v_mul_lo_u32 v3, v2, s10
	v_sub_u32_e32 v3, v0, v3
	v_add_u32_e32 v4, 1, v2
	v_subrev_u32_e32 v5, s10, v3
	v_cmp_le_u32_e32 vcc, s10, v3
	v_cndmask_b32_e32 v3, v3, v5, vcc
	v_cndmask_b32_e32 v2, v2, v4, vcc
	v_add_u32_e32 v4, 1, v2
	v_cmp_le_u32_e32 vcc, s10, v3
	v_cndmask_b32_e32 v4, v2, v4, vcc
	v_mov_b32_e32 v5, 0
.LBB68_5:
	s_or_b64 exec, exec, s[0:1]
	v_or_b32_e32 v3, s15, v5
	v_mov_b32_e32 v2, 0
	v_cmp_ne_u64_e32 vcc, 0, v[2:3]
                                        ; implicit-def: $vgpr2_vgpr3
	s_and_saveexec_b64 s[0:1], vcc
	s_xor_b64 s[12:13], exec, s[0:1]
	s_cbranch_execz .LBB68_7
; %bb.6:
	s_ashr_i32 s0, s15, 31
	s_add_u32 s2, s14, s0
	s_mov_b32 s1, s0
	s_addc_u32 s3, s15, s0
	s_xor_b64 s[16:17], s[2:3], s[0:1]
	v_cvt_f32_u32_e32 v2, s16
	v_cvt_f32_u32_e32 v3, s17
	s_sub_u32 s0, 0, s16
	s_subb_u32 s1, 0, s17
	v_madmk_f32 v2, v3, 0x4f800000, v2
	v_rcp_f32_e32 v2, v2
	v_mul_f32_e32 v2, 0x5f7ffffc, v2
	v_mul_f32_e32 v3, 0x2f800000, v2
	v_trunc_f32_e32 v3, v3
	v_madmk_f32 v2, v3, 0xcf800000, v2
	v_cvt_u32_f32_e32 v3, v3
	v_cvt_u32_f32_e32 v2, v2
	v_mul_lo_u32 v6, s0, v3
	v_mul_hi_u32 v8, s0, v2
	v_mul_lo_u32 v7, s1, v2
	v_add_u32_e32 v6, v8, v6
	v_mul_lo_u32 v9, s0, v2
	v_add_u32_e32 v6, v6, v7
	v_mul_lo_u32 v8, v2, v6
	v_mul_hi_u32 v10, v2, v9
	v_mul_hi_u32 v7, v2, v6
	v_add_co_u32_e32 v8, vcc, v10, v8
	v_addc_co_u32_e32 v7, vcc, 0, v7, vcc
	v_mul_hi_u32 v11, v3, v9
	v_mul_lo_u32 v9, v3, v9
	v_add_co_u32_e32 v8, vcc, v8, v9
	v_mul_hi_u32 v10, v3, v6
	v_addc_co_u32_e32 v7, vcc, v7, v11, vcc
	v_addc_co_u32_e32 v8, vcc, 0, v10, vcc
	v_mul_lo_u32 v6, v3, v6
	v_add_co_u32_e32 v6, vcc, v7, v6
	v_addc_co_u32_e32 v7, vcc, 0, v8, vcc
	v_add_co_u32_e32 v2, vcc, v2, v6
	v_addc_co_u32_e32 v3, vcc, v3, v7, vcc
	v_mul_lo_u32 v6, s0, v3
	v_mul_hi_u32 v7, s0, v2
	v_add_u32_e32 v6, v7, v6
	v_mul_lo_u32 v7, s1, v2
	v_add_u32_e32 v6, v6, v7
	v_mul_lo_u32 v8, s0, v2
	v_mul_hi_u32 v9, v3, v8
	v_mul_lo_u32 v10, v3, v8
	v_mul_lo_u32 v12, v2, v6
	v_mul_hi_u32 v8, v2, v8
	v_mul_hi_u32 v11, v2, v6
	v_add_co_u32_e32 v8, vcc, v8, v12
	v_addc_co_u32_e32 v11, vcc, 0, v11, vcc
	v_add_co_u32_e32 v8, vcc, v8, v10
	v_mul_hi_u32 v7, v3, v6
	v_addc_co_u32_e32 v8, vcc, v11, v9, vcc
	v_addc_co_u32_e32 v7, vcc, 0, v7, vcc
	v_mul_lo_u32 v6, v3, v6
	v_add_co_u32_e32 v6, vcc, v8, v6
	v_addc_co_u32_e32 v7, vcc, 0, v7, vcc
	v_add_co_u32_e32 v6, vcc, v2, v6
	v_addc_co_u32_e32 v7, vcc, v3, v7, vcc
	v_ashrrev_i32_e32 v8, 31, v5
	v_add_co_u32_e32 v2, vcc, v4, v8
	v_addc_co_u32_e32 v3, vcc, v5, v8, vcc
	v_xor_b32_e32 v10, v2, v8
	v_xor_b32_e32 v9, v3, v8
	v_mad_u64_u32 v[2:3], s[0:1], v10, v7, 0
	v_mul_hi_u32 v11, v10, v6
	v_add_co_u32_e32 v11, vcc, v11, v2
	v_addc_co_u32_e32 v12, vcc, 0, v3, vcc
	v_mad_u64_u32 v[2:3], s[0:1], v9, v7, 0
	v_mad_u64_u32 v[6:7], s[0:1], v9, v6, 0
	v_add_co_u32_e32 v6, vcc, v11, v6
	v_addc_co_u32_e32 v6, vcc, v12, v7, vcc
	v_addc_co_u32_e32 v3, vcc, 0, v3, vcc
	v_add_co_u32_e32 v2, vcc, v6, v2
	v_addc_co_u32_e32 v3, vcc, 0, v3, vcc
	v_mul_lo_u32 v6, s17, v2
	v_mul_lo_u32 v7, s16, v3
	v_mad_u64_u32 v[2:3], s[0:1], s16, v2, 0
	v_add3_u32 v3, v3, v7, v6
	v_sub_u32_e32 v6, v9, v3
	v_mov_b32_e32 v7, s17
	v_sub_co_u32_e32 v2, vcc, v10, v2
	v_subb_co_u32_e64 v6, s[0:1], v6, v7, vcc
	v_subrev_co_u32_e64 v10, s[0:1], s16, v2
	v_subbrev_co_u32_e64 v11, s[2:3], 0, v6, s[0:1]
	v_cmp_le_u32_e64 s[2:3], s17, v11
	v_cndmask_b32_e64 v12, 0, -1, s[2:3]
	v_cmp_le_u32_e64 s[2:3], s16, v10
	v_subb_co_u32_e64 v6, s[0:1], v6, v7, s[0:1]
	v_cndmask_b32_e64 v13, 0, -1, s[2:3]
	v_cmp_eq_u32_e64 s[2:3], s17, v11
	v_subrev_co_u32_e64 v7, s[0:1], s16, v10
	v_subb_co_u32_e32 v3, vcc, v9, v3, vcc
	v_cndmask_b32_e64 v12, v12, v13, s[2:3]
	v_subbrev_co_u32_e64 v6, s[0:1], 0, v6, s[0:1]
	v_cmp_le_u32_e32 vcc, s17, v3
	v_cmp_ne_u32_e64 s[0:1], 0, v12
	v_cndmask_b32_e64 v9, 0, -1, vcc
	v_cmp_le_u32_e32 vcc, s16, v2
	v_cndmask_b32_e64 v6, v11, v6, s[0:1]
	v_cndmask_b32_e64 v11, 0, -1, vcc
	v_cmp_eq_u32_e32 vcc, s17, v3
	v_cndmask_b32_e32 v9, v9, v11, vcc
	v_cmp_ne_u32_e32 vcc, 0, v9
	v_cndmask_b32_e32 v3, v3, v6, vcc
	v_cndmask_b32_e64 v6, v10, v7, s[0:1]
	v_cndmask_b32_e32 v2, v2, v6, vcc
	v_xor_b32_e32 v2, v2, v8
	v_xor_b32_e32 v3, v3, v8
	v_sub_co_u32_e32 v2, vcc, v2, v8
	v_subb_co_u32_e32 v3, vcc, v3, v8, vcc
.LBB68_7:
	s_or_saveexec_b64 s[0:1], s[12:13]
	s_load_dwordx2 s[28:29], s[4:5], 0xa8
	s_load_dwordx8 s[36:43], s[4:5], 0x88
	s_xor_b64 exec, exec, s[0:1]
	s_cbranch_execz .LBB68_9
; %bb.8:
	v_cvt_f32_u32_e32 v2, s14
	s_sub_i32 s2, 0, s14
	v_rcp_iflag_f32_e32 v2, v2
	v_mul_f32_e32 v2, 0x4f7ffffe, v2
	v_cvt_u32_f32_e32 v2, v2
	v_mul_lo_u32 v3, s2, v2
	v_mul_hi_u32 v3, v2, v3
	v_add_u32_e32 v2, v2, v3
	v_mul_hi_u32 v2, v4, v2
	v_mul_lo_u32 v2, v2, s14
	v_sub_u32_e32 v2, v4, v2
	v_subrev_u32_e32 v3, s14, v2
	v_cmp_le_u32_e32 vcc, s14, v2
	v_cndmask_b32_e32 v2, v2, v3, vcc
	v_subrev_u32_e32 v3, s14, v2
	v_cmp_le_u32_e32 vcc, s14, v2
	v_cndmask_b32_e32 v2, v2, v3, vcc
	v_mov_b32_e32 v3, 0
.LBB68_9:
	s_or_b64 exec, exec, s[0:1]
	s_load_dwordx2 s[30:31], s[4:5], 0x58
	s_load_dwordx2 s[2:3], s[4:5], 0x0
	v_or_b32_e32 v7, s9, v1
	v_mov_b32_e32 v6, 0
	v_cmp_ne_u64_e32 vcc, 0, v[6:7]
                                        ; implicit-def: $vgpr6_vgpr7
	s_and_saveexec_b64 s[0:1], vcc
	s_xor_b64 s[12:13], exec, s[0:1]
	s_cbranch_execz .LBB68_11
; %bb.10:
	s_ashr_i32 s14, s9, 31
	s_add_u32 s0, s6, s14
	s_mov_b32 s15, s14
	s_addc_u32 s1, s9, s14
	s_xor_b64 s[16:17], s[0:1], s[14:15]
	v_cvt_f32_u32_e32 v6, s16
	v_cvt_f32_u32_e32 v7, s17
	s_sub_u32 s0, 0, s16
	s_subb_u32 s1, 0, s17
	v_madmk_f32 v6, v7, 0x4f800000, v6
	v_rcp_f32_e32 v6, v6
	v_mul_f32_e32 v6, 0x5f7ffffc, v6
	v_mul_f32_e32 v7, 0x2f800000, v6
	v_trunc_f32_e32 v7, v7
	v_madmk_f32 v6, v7, 0xcf800000, v6
	v_cvt_u32_f32_e32 v7, v7
	v_cvt_u32_f32_e32 v6, v6
	v_mul_lo_u32 v8, s0, v7
	v_mul_hi_u32 v10, s0, v6
	v_mul_lo_u32 v9, s1, v6
	v_add_u32_e32 v8, v10, v8
	v_mul_lo_u32 v11, s0, v6
	v_add_u32_e32 v8, v8, v9
	v_mul_lo_u32 v10, v6, v8
	v_mul_hi_u32 v12, v6, v11
	v_mul_hi_u32 v9, v6, v8
	v_add_co_u32_e32 v10, vcc, v12, v10
	v_addc_co_u32_e32 v9, vcc, 0, v9, vcc
	v_mul_hi_u32 v13, v7, v11
	v_mul_lo_u32 v11, v7, v11
	v_add_co_u32_e32 v10, vcc, v10, v11
	v_mul_hi_u32 v12, v7, v8
	v_addc_co_u32_e32 v9, vcc, v9, v13, vcc
	v_addc_co_u32_e32 v10, vcc, 0, v12, vcc
	v_mul_lo_u32 v8, v7, v8
	v_add_co_u32_e32 v8, vcc, v9, v8
	v_addc_co_u32_e32 v9, vcc, 0, v10, vcc
	v_add_co_u32_e32 v6, vcc, v6, v8
	v_addc_co_u32_e32 v7, vcc, v7, v9, vcc
	v_mul_lo_u32 v8, s0, v7
	v_mul_hi_u32 v9, s0, v6
	v_add_u32_e32 v8, v9, v8
	v_mul_lo_u32 v9, s1, v6
	v_add_u32_e32 v8, v8, v9
	v_mul_lo_u32 v10, s0, v6
	v_mul_hi_u32 v11, v7, v10
	v_mul_lo_u32 v12, v7, v10
	v_mul_lo_u32 v14, v6, v8
	v_mul_hi_u32 v10, v6, v10
	v_mul_hi_u32 v13, v6, v8
	v_add_co_u32_e32 v10, vcc, v10, v14
	v_addc_co_u32_e32 v13, vcc, 0, v13, vcc
	v_add_co_u32_e32 v10, vcc, v10, v12
	v_mul_hi_u32 v9, v7, v8
	v_addc_co_u32_e32 v10, vcc, v13, v11, vcc
	v_addc_co_u32_e32 v9, vcc, 0, v9, vcc
	v_mul_lo_u32 v8, v7, v8
	v_add_co_u32_e32 v8, vcc, v10, v8
	v_addc_co_u32_e32 v9, vcc, 0, v9, vcc
	v_add_co_u32_e32 v8, vcc, v6, v8
	v_addc_co_u32_e32 v9, vcc, v7, v9, vcc
	v_ashrrev_i32_e32 v10, 31, v1
	v_add_co_u32_e32 v6, vcc, v0, v10
	v_addc_co_u32_e32 v7, vcc, v1, v10, vcc
	v_xor_b32_e32 v12, v6, v10
	v_xor_b32_e32 v11, v7, v10
	v_mad_u64_u32 v[6:7], s[0:1], v12, v9, 0
	v_mul_hi_u32 v13, v12, v8
	v_add_co_u32_e32 v13, vcc, v13, v6
	v_addc_co_u32_e32 v14, vcc, 0, v7, vcc
	v_mad_u64_u32 v[6:7], s[0:1], v11, v9, 0
	v_mad_u64_u32 v[8:9], s[0:1], v11, v8, 0
	v_add_co_u32_e32 v8, vcc, v13, v8
	v_addc_co_u32_e32 v8, vcc, v14, v9, vcc
	v_addc_co_u32_e32 v7, vcc, 0, v7, vcc
	v_add_co_u32_e32 v8, vcc, v8, v6
	v_addc_co_u32_e32 v9, vcc, 0, v7, vcc
	v_mul_lo_u32 v13, s17, v8
	v_mul_lo_u32 v14, s16, v9
	v_mad_u64_u32 v[6:7], s[0:1], s16, v8, 0
	v_add3_u32 v7, v7, v14, v13
	v_sub_u32_e32 v13, v11, v7
	v_mov_b32_e32 v14, s17
	v_sub_co_u32_e32 v6, vcc, v12, v6
	v_subb_co_u32_e64 v12, s[0:1], v13, v14, vcc
	v_subrev_co_u32_e64 v13, s[0:1], s16, v6
	v_subbrev_co_u32_e64 v12, s[0:1], 0, v12, s[0:1]
	v_cmp_le_u32_e64 s[0:1], s17, v12
	v_cndmask_b32_e64 v14, 0, -1, s[0:1]
	v_cmp_le_u32_e64 s[0:1], s16, v13
	v_cndmask_b32_e64 v13, 0, -1, s[0:1]
	v_cmp_eq_u32_e64 s[0:1], s17, v12
	v_cndmask_b32_e64 v12, v14, v13, s[0:1]
	v_add_co_u32_e64 v13, s[0:1], 2, v8
	v_subb_co_u32_e32 v7, vcc, v11, v7, vcc
	v_addc_co_u32_e64 v14, s[0:1], 0, v9, s[0:1]
	v_cmp_le_u32_e32 vcc, s17, v7
	v_add_co_u32_e64 v15, s[0:1], 1, v8
	v_cndmask_b32_e64 v11, 0, -1, vcc
	v_cmp_le_u32_e32 vcc, s16, v6
	v_addc_co_u32_e64 v16, s[0:1], 0, v9, s[0:1]
	v_cndmask_b32_e64 v6, 0, -1, vcc
	v_cmp_eq_u32_e32 vcc, s17, v7
	v_cmp_ne_u32_e64 s[0:1], 0, v12
	v_cndmask_b32_e32 v6, v11, v6, vcc
	v_cndmask_b32_e64 v12, v16, v14, s[0:1]
	v_cmp_ne_u32_e32 vcc, 0, v6
	v_cndmask_b32_e64 v7, v15, v13, s[0:1]
	v_cndmask_b32_e32 v6, v9, v12, vcc
	v_cndmask_b32_e32 v7, v8, v7, vcc
	v_xor_b32_e32 v8, s14, v10
	v_xor_b32_e32 v9, v6, v8
	;; [unrolled: 1-line block ×3, first 2 shown]
	v_sub_co_u32_e32 v6, vcc, v6, v8
	v_subb_co_u32_e32 v7, vcc, v9, v8, vcc
.LBB68_11:
	s_or_saveexec_b64 s[0:1], s[12:13]
	s_load_dwordx16 s[12:27], s[4:5], 0x18
	s_xor_b64 exec, exec, s[0:1]
	s_cbranch_execz .LBB68_13
; %bb.12:
	v_cvt_f32_u32_e32 v6, s6
	s_sub_i32 s9, 0, s6
	v_rcp_iflag_f32_e32 v6, v6
	v_mul_f32_e32 v6, 0x4f7ffffe, v6
	v_cvt_u32_f32_e32 v6, v6
	v_mul_lo_u32 v7, s9, v6
	v_mul_hi_u32 v7, v6, v7
	v_add_u32_e32 v6, v6, v7
	v_mul_hi_u32 v6, v0, v6
	v_mul_lo_u32 v7, v6, s6
	v_sub_u32_e32 v7, v0, v7
	v_add_u32_e32 v8, 1, v6
	v_subrev_u32_e32 v9, s6, v7
	v_cmp_le_u32_e32 vcc, s6, v7
	v_cndmask_b32_e32 v7, v7, v9, vcc
	v_cndmask_b32_e32 v6, v6, v8, vcc
	v_add_u32_e32 v8, 1, v6
	v_cmp_le_u32_e32 vcc, s6, v7
	v_cndmask_b32_e32 v6, v6, v8, vcc
	v_mov_b32_e32 v7, 0
.LBB68_13:
	s_or_b64 exec, exec, s[0:1]
	s_load_dwordx8 s[44:51], s[4:5], 0xb0
	v_mul_lo_u32 v8, v5, s10
	v_mul_lo_u32 v9, v4, s11
	v_mad_u64_u32 v[4:5], s[0:1], v4, s10, 0
	s_load_dwordx2 s[0:1], s[4:5], 0xd0
	s_waitcnt lgkmcnt(0)
	s_sub_u32 s4, 0, s44
	s_subb_u32 s5, 0, s45
	s_sub_u32 s10, 0, s46
	s_subb_u32 s11, 0, s47
	;; [unrolled: 2-line block ×3, first 2 shown]
	v_cmp_gt_i64_e64 s[52:53], s[4:5], 0
	s_and_b64 s[52:53], s[52:53], exec
	s_cselect_b32 s6, s5, 0
	s_cselect_b32 s9, s4, 0
	v_cmp_gt_i64_e64 s[4:5], s[44:45], 0
	s_and_b64 s[4:5], s[4:5], exec
	v_cmp_gt_i64_e64 s[4:5], s[10:11], 0
	s_cselect_b32 s53, s45, 0
	s_cselect_b32 s52, s44, 0
	s_and_b64 s[4:5], s[4:5], exec
	v_add3_u32 v5, v5, v9, v8
	v_sub_co_u32_e32 v4, vcc, v0, v4
	v_cmp_gt_i64_e64 s[4:5], s[46:47], 0
	v_subb_co_u32_e32 v5, vcc, v1, v5, vcc
	s_cselect_b32 s33, s11, 0
	s_cselect_b32 s54, s10, 0
	s_and_b64 s[4:5], s[4:5], exec
	v_cmp_gt_i64_e64 s[4:5], s[34:35], 0
	v_mov_b32_e32 v1, s45
	v_subrev_co_u32_e32 v0, vcc, s44, v4
	s_cselect_b32 s11, s47, 0
	s_cselect_b32 s10, s46, 0
	s_and_b64 s[4:5], s[4:5], exec
	v_subb_co_u32_e32 v1, vcc, v5, v1, vcc
	v_cmp_gt_i64_e64 s[4:5], s[48:49], 0
	v_ashrrev_i32_e32 v8, 31, v1
	s_cselect_b32 s55, s35, 0
	s_cselect_b32 s56, s34, 0
	s_and_b64 s[4:5], s[4:5], exec
	v_xor_b32_e32 v0, v0, v8
	s_cselect_b32 s5, s49, 0
	s_cselect_b32 s4, s48, 0
	v_xor_b32_e32 v1, v1, v8
	v_sub_co_u32_e32 v9, vcc, v0, v8
	s_add_u32 s34, s16, s44
	v_subb_co_u32_e32 v8, vcc, v1, v8, vcc
	s_addc_u32 s35, s17, s45
	v_mov_b32_e32 v1, s35
	v_subrev_co_u32_e32 v0, vcc, s34, v4
	v_subb_co_u32_e32 v1, vcc, v5, v1, vcc
	v_add_co_u32_e32 v0, vcc, 1, v0
	v_addc_co_u32_e32 v1, vcc, 0, v1, vcc
	s_lshl_b64 s[34:35], s[44:45], 1
	s_not_b64 s[44:45], s[52:53]
	v_ashrrev_i32_e32 v10, 31, v1
	s_add_u32 s34, s34, s44
	v_xor_b32_e32 v0, v0, v10
	s_addc_u32 s35, s35, s45
	v_xor_b32_e32 v1, v1, v10
	v_sub_co_u32_e32 v0, vcc, v0, v10
	s_add_u32 s9, s34, s9
	v_subb_co_u32_e32 v1, vcc, v1, v10, vcc
	s_addc_u32 s6, s35, s6
	s_add_u32 s9, s9, s16
	v_add_co_u32_e32 v0, vcc, v4, v0
	s_addc_u32 s6, s6, s17
	v_addc_co_u32_e32 v1, vcc, v5, v1, vcc
	v_mov_b32_e32 v10, s6
	v_sub_co_u32_e32 v0, vcc, s9, v0
	v_subb_co_u32_e32 v1, vcc, v10, v1, vcc
	v_add_co_u32_e32 v9, vcc, v0, v9
	v_addc_co_u32_e32 v8, vcc, v1, v8, vcc
	v_mov_b32_e32 v0, s47
	v_subrev_co_u32_e32 v1, vcc, s46, v2
	v_subb_co_u32_e32 v0, vcc, v3, v0, vcc
	v_ashrrev_i32_e32 v10, 31, v0
	v_xor_b32_e32 v1, v1, v10
	v_xor_b32_e32 v0, v0, v10
	v_sub_co_u32_e32 v1, vcc, v1, v10
	s_add_u32 s6, s14, s46
	v_subb_co_u32_e32 v0, vcc, v0, v10, vcc
	s_addc_u32 s9, s15, s47
	v_mov_b32_e32 v10, s9
	v_subrev_co_u32_e32 v11, vcc, s6, v2
	v_subb_co_u32_e32 v10, vcc, v3, v10, vcc
	v_add_co_u32_e32 v11, vcc, 1, v11
	v_addc_co_u32_e32 v10, vcc, 0, v10, vcc
	s_lshl_b64 s[16:17], s[46:47], 1
	s_not_b64 s[10:11], s[10:11]
	v_ashrrev_i32_e32 v12, 31, v10
	s_add_u32 s6, s16, s10
	v_xor_b32_e32 v11, v11, v12
	s_addc_u32 s9, s17, s11
	v_xor_b32_e32 v10, v10, v12
	v_sub_co_u32_e32 v11, vcc, v11, v12
	s_add_u32 s6, s6, s54
	v_subb_co_u32_e32 v10, vcc, v10, v12, vcc
	s_addc_u32 s9, s9, s33
	s_add_u32 s6, s6, s14
	v_add_co_u32_e32 v11, vcc, v2, v11
	s_addc_u32 s9, s9, s15
	v_addc_co_u32_e32 v10, vcc, v3, v10, vcc
	v_sub_co_u32_e32 v11, vcc, s6, v11
	s_add_u32 s6, s12, s48
	v_mov_b32_e32 v12, s9
	s_addc_u32 s9, s13, s49
	s_lshl_b64 s[10:11], s[48:49], 1
	s_not_b64 s[4:5], s[4:5]
	s_add_u32 s4, s10, s4
	s_addc_u32 s5, s11, s5
	s_add_u32 s4, s4, s56
	s_addc_u32 s5, s5, s55
	s_add_u32 s4, s4, s12
	s_addc_u32 s5, s5, s13
	s_add_u32 s7, s7, s50
	s_addc_u32 s10, 0, s51
	s_add_u32 s8, s8, s0
	s_addc_u32 s11, 0, s1
	s_mul_i32 s0, s36, s11
	s_mul_hi_u32 s1, s36, s8
	s_add_i32 s0, s1, s0
	s_mul_i32 s1, s37, s8
	s_add_i32 s1, s0, s1
	s_mul_i32 s0, s36, s8
	s_lshl_b64 s[0:1], s[0:1], 3
	v_subb_co_u32_e32 v10, vcc, v12, v10, vcc
	s_add_u32 s12, s30, s0
	v_add_co_u32_e32 v11, vcc, v11, v1
	s_addc_u32 s13, s31, s1
	s_mul_i32 s0, s38, s10
	s_mul_hi_u32 s1, s38, s7
	v_addc_co_u32_e32 v10, vcc, v10, v0, vcc
	s_add_i32 s0, s1, s0
	s_mul_i32 s1, s39, s7
	v_mov_b32_e32 v0, s49
	v_subrev_co_u32_e32 v1, vcc, s48, v6
	s_add_i32 s1, s0, s1
	s_mul_i32 s0, s38, s7
	v_subb_co_u32_e32 v0, vcc, v7, v0, vcc
	s_lshl_b64 s[0:1], s[0:1], 3
	v_ashrrev_i32_e32 v12, 31, v0
	s_add_u32 s12, s12, s0
	v_xor_b32_e32 v13, v0, v12
	v_xor_b32_e32 v14, v1, v12
	s_addc_u32 s13, s13, s1
	v_mul_lo_u32 v15, v7, s40
	v_mul_lo_u32 v16, v6, s41
	v_mad_u64_u32 v[0:1], s[0:1], v6, s40, 0
	v_add3_u32 v1, v1, v16, v15
	v_lshlrev_b64 v[0:1], 3, v[0:1]
	v_mov_b32_e32 v15, s13
	v_add_co_u32_e32 v16, vcc, s12, v0
	v_addc_co_u32_e32 v15, vcc, v15, v1, vcc
	v_mul_lo_u32 v3, v3, s42
	v_mul_lo_u32 v17, v2, s43
	v_mad_u64_u32 v[0:1], s[0:1], v2, s42, 0
	v_add3_u32 v1, v1, v17, v3
	v_lshlrev_b64 v[0:1], 3, v[0:1]
	v_add_co_u32_e32 v2, vcc, v16, v0
	v_addc_co_u32_e32 v3, vcc, v15, v1, vcc
	v_mul_lo_u32 v5, v5, s28
	v_mul_lo_u32 v15, v4, s29
	v_mad_u64_u32 v[0:1], s[0:1], v4, s28, 0
	v_add3_u32 v1, v1, v15, v5
	v_lshlrev_b64 v[0:1], 3, v[0:1]
	v_add_co_u32_e32 v0, vcc, v2, v0
	v_addc_co_u32_e32 v1, vcc, v3, v1, vcc
	global_load_dwordx2 v[0:1], v[0:1], off
	v_sub_co_u32_e32 v2, vcc, v14, v12
	v_subb_co_u32_e32 v3, vcc, v13, v12, vcc
	v_mov_b32_e32 v4, s9
	v_subrev_co_u32_e32 v5, vcc, s6, v6
	v_subb_co_u32_e32 v4, vcc, v7, v4, vcc
	v_add_co_u32_e32 v5, vcc, 1, v5
	v_addc_co_u32_e32 v4, vcc, 0, v4, vcc
	v_ashrrev_i32_e32 v12, 31, v4
	s_mul_i32 s0, s18, s11
	s_mul_hi_u32 s1, s18, s8
	v_xor_b32_e32 v5, v5, v12
	s_add_i32 s0, s1, s0
	s_mul_i32 s1, s19, s8
	v_xor_b32_e32 v4, v4, v12
	v_sub_co_u32_e32 v5, vcc, v5, v12
	s_add_i32 s1, s0, s1
	s_mul_i32 s0, s18, s8
	v_subb_co_u32_e32 v4, vcc, v4, v12, vcc
	s_lshl_b64 s[0:1], s[0:1], 3
	v_add_co_u32_e32 v5, vcc, v6, v5
	s_add_u32 s2, s2, s0
	v_addc_co_u32_e32 v4, vcc, v7, v4, vcc
	s_addc_u32 s3, s3, s1
	s_mul_i32 s0, s20, s10
	s_mul_hi_u32 s1, s20, s7
	v_mov_b32_e32 v6, s5
	v_sub_co_u32_e32 v5, vcc, s4, v5
	s_add_i32 s0, s1, s0
	s_mul_i32 s1, s21, s7
	v_subb_co_u32_e32 v4, vcc, v6, v4, vcc
	s_add_i32 s1, s0, s1
	s_mul_i32 s0, s20, s7
	v_add_co_u32_e32 v2, vcc, v5, v2
	s_lshl_b64 s[0:1], s[0:1], 3
	v_addc_co_u32_e32 v3, vcc, v4, v3, vcc
	s_add_u32 s2, s2, s0
	s_addc_u32 s3, s3, s1
	v_mul_lo_u32 v4, v3, s22
	v_mul_lo_u32 v5, v2, s23
	v_mad_u64_u32 v[2:3], s[0:1], v2, s22, 0
	v_add3_u32 v3, v3, v5, v4
	v_lshlrev_b64 v[2:3], 3, v[2:3]
	v_mov_b32_e32 v4, s3
	v_add_co_u32_e32 v5, vcc, s2, v2
	v_addc_co_u32_e32 v4, vcc, v4, v3, vcc
	v_mul_lo_u32 v6, v10, s24
	v_mul_lo_u32 v7, v11, s25
	v_mad_u64_u32 v[2:3], s[0:1], v11, s24, 0
	v_add3_u32 v3, v3, v7, v6
	v_lshlrev_b64 v[2:3], 3, v[2:3]
	v_add_co_u32_e32 v5, vcc, v5, v2
	v_addc_co_u32_e32 v4, vcc, v4, v3, vcc
	v_mul_lo_u32 v6, v8, s26
	v_mul_lo_u32 v7, v9, s27
	v_mad_u64_u32 v[2:3], s[0:1], v9, s26, 0
	v_add3_u32 v3, v3, v7, v6
	v_lshlrev_b64 v[2:3], 3, v[2:3]
	v_add_co_u32_e32 v2, vcc, v5, v2
	v_addc_co_u32_e32 v3, vcc, v4, v3, vcc
	s_waitcnt vmcnt(0)
	global_atomic_add_f64 v[2:3], v[0:1], off
.LBB68_14:
	s_endpgm
	.section	.rodata,"a",@progbits
	.p2align	6, 0x0
	.amdhsa_kernel _ZN2at6native12_GLOBAL__N_136reflection_pad3d_backward_out_kernelIdEEvN5torch10headeronly6detail27GenericPackedTensorAccessorINS5_14TensorAccessorIN3c108ArrayRefIlEET_Lm4ENS4_16DefaultPtrTraitsElEENS_6detail16IndexBoundsCheckILm5ElEESB_Lm5ESC_lEENS6_INS7_ISA_KSB_Lm4ESC_lEESG_SI_Lm5ESC_lEElllll
		.amdhsa_group_segment_fixed_size 0
		.amdhsa_private_segment_fixed_size 0
		.amdhsa_kernarg_size 472
		.amdhsa_user_sgpr_count 6
		.amdhsa_user_sgpr_private_segment_buffer 1
		.amdhsa_user_sgpr_dispatch_ptr 0
		.amdhsa_user_sgpr_queue_ptr 0
		.amdhsa_user_sgpr_kernarg_segment_ptr 1
		.amdhsa_user_sgpr_dispatch_id 0
		.amdhsa_user_sgpr_flat_scratch_init 0
		.amdhsa_user_sgpr_kernarg_preload_length 0
		.amdhsa_user_sgpr_kernarg_preload_offset 0
		.amdhsa_user_sgpr_private_segment_size 0
		.amdhsa_uses_dynamic_stack 0
		.amdhsa_system_sgpr_private_segment_wavefront_offset 0
		.amdhsa_system_sgpr_workgroup_id_x 1
		.amdhsa_system_sgpr_workgroup_id_y 1
		.amdhsa_system_sgpr_workgroup_id_z 1
		.amdhsa_system_sgpr_workgroup_info 0
		.amdhsa_system_vgpr_workitem_id 0
		.amdhsa_next_free_vgpr 18
		.amdhsa_next_free_sgpr 57
		.amdhsa_accum_offset 20
		.amdhsa_reserve_vcc 1
		.amdhsa_reserve_flat_scratch 0
		.amdhsa_float_round_mode_32 0
		.amdhsa_float_round_mode_16_64 0
		.amdhsa_float_denorm_mode_32 3
		.amdhsa_float_denorm_mode_16_64 3
		.amdhsa_dx10_clamp 1
		.amdhsa_ieee_mode 1
		.amdhsa_fp16_overflow 0
		.amdhsa_tg_split 0
		.amdhsa_exception_fp_ieee_invalid_op 0
		.amdhsa_exception_fp_denorm_src 0
		.amdhsa_exception_fp_ieee_div_zero 0
		.amdhsa_exception_fp_ieee_overflow 0
		.amdhsa_exception_fp_ieee_underflow 0
		.amdhsa_exception_fp_ieee_inexact 0
		.amdhsa_exception_int_div_zero 0
	.end_amdhsa_kernel
	.section	.text._ZN2at6native12_GLOBAL__N_136reflection_pad3d_backward_out_kernelIdEEvN5torch10headeronly6detail27GenericPackedTensorAccessorINS5_14TensorAccessorIN3c108ArrayRefIlEET_Lm4ENS4_16DefaultPtrTraitsElEENS_6detail16IndexBoundsCheckILm5ElEESB_Lm5ESC_lEENS6_INS7_ISA_KSB_Lm4ESC_lEESG_SI_Lm5ESC_lEElllll,"axG",@progbits,_ZN2at6native12_GLOBAL__N_136reflection_pad3d_backward_out_kernelIdEEvN5torch10headeronly6detail27GenericPackedTensorAccessorINS5_14TensorAccessorIN3c108ArrayRefIlEET_Lm4ENS4_16DefaultPtrTraitsElEENS_6detail16IndexBoundsCheckILm5ElEESB_Lm5ESC_lEENS6_INS7_ISA_KSB_Lm4ESC_lEESG_SI_Lm5ESC_lEElllll,comdat
.Lfunc_end68:
	.size	_ZN2at6native12_GLOBAL__N_136reflection_pad3d_backward_out_kernelIdEEvN5torch10headeronly6detail27GenericPackedTensorAccessorINS5_14TensorAccessorIN3c108ArrayRefIlEET_Lm4ENS4_16DefaultPtrTraitsElEENS_6detail16IndexBoundsCheckILm5ElEESB_Lm5ESC_lEENS6_INS7_ISA_KSB_Lm4ESC_lEESG_SI_Lm5ESC_lEElllll, .Lfunc_end68-_ZN2at6native12_GLOBAL__N_136reflection_pad3d_backward_out_kernelIdEEvN5torch10headeronly6detail27GenericPackedTensorAccessorINS5_14TensorAccessorIN3c108ArrayRefIlEET_Lm4ENS4_16DefaultPtrTraitsElEENS_6detail16IndexBoundsCheckILm5ElEESB_Lm5ESC_lEENS6_INS7_ISA_KSB_Lm4ESC_lEESG_SI_Lm5ESC_lEElllll
                                        ; -- End function
	.section	.AMDGPU.csdata,"",@progbits
; Kernel info:
; codeLenInByte = 3680
; NumSgprs: 61
; NumVgprs: 18
; NumAgprs: 0
; TotalNumVgprs: 18
; ScratchSize: 0
; MemoryBound: 0
; FloatMode: 240
; IeeeMode: 1
; LDSByteSize: 0 bytes/workgroup (compile time only)
; SGPRBlocks: 7
; VGPRBlocks: 2
; NumSGPRsForWavesPerEU: 61
; NumVGPRsForWavesPerEU: 18
; AccumOffset: 20
; Occupancy: 8
; WaveLimiterHint : 0
; COMPUTE_PGM_RSRC2:SCRATCH_EN: 0
; COMPUTE_PGM_RSRC2:USER_SGPR: 6
; COMPUTE_PGM_RSRC2:TRAP_HANDLER: 0
; COMPUTE_PGM_RSRC2:TGID_X_EN: 1
; COMPUTE_PGM_RSRC2:TGID_Y_EN: 1
; COMPUTE_PGM_RSRC2:TGID_Z_EN: 1
; COMPUTE_PGM_RSRC2:TIDIG_COMP_CNT: 0
; COMPUTE_PGM_RSRC3_GFX90A:ACCUM_OFFSET: 4
; COMPUTE_PGM_RSRC3_GFX90A:TG_SPLIT: 0
	.section	.text._ZN2at6native12_GLOBAL__N_136reflection_pad3d_backward_out_kernelIfEEvN5torch10headeronly6detail27GenericPackedTensorAccessorINS5_14TensorAccessorIN3c108ArrayRefIlEET_Lm4ENS4_16DefaultPtrTraitsElEENS_6detail16IndexBoundsCheckILm5ElEESB_Lm5ESC_lEENS6_INS7_ISA_KSB_Lm4ESC_lEESG_SI_Lm5ESC_lEElllll,"axG",@progbits,_ZN2at6native12_GLOBAL__N_136reflection_pad3d_backward_out_kernelIfEEvN5torch10headeronly6detail27GenericPackedTensorAccessorINS5_14TensorAccessorIN3c108ArrayRefIlEET_Lm4ENS4_16DefaultPtrTraitsElEENS_6detail16IndexBoundsCheckILm5ElEESB_Lm5ESC_lEENS6_INS7_ISA_KSB_Lm4ESC_lEESG_SI_Lm5ESC_lEElllll,comdat
	.globl	_ZN2at6native12_GLOBAL__N_136reflection_pad3d_backward_out_kernelIfEEvN5torch10headeronly6detail27GenericPackedTensorAccessorINS5_14TensorAccessorIN3c108ArrayRefIlEET_Lm4ENS4_16DefaultPtrTraitsElEENS_6detail16IndexBoundsCheckILm5ElEESB_Lm5ESC_lEENS6_INS7_ISA_KSB_Lm4ESC_lEESG_SI_Lm5ESC_lEElllll ; -- Begin function _ZN2at6native12_GLOBAL__N_136reflection_pad3d_backward_out_kernelIfEEvN5torch10headeronly6detail27GenericPackedTensorAccessorINS5_14TensorAccessorIN3c108ArrayRefIlEET_Lm4ENS4_16DefaultPtrTraitsElEENS_6detail16IndexBoundsCheckILm5ElEESB_Lm5ESC_lEENS6_INS7_ISA_KSB_Lm4ESC_lEESG_SI_Lm5ESC_lEElllll
	.p2align	8
	.type	_ZN2at6native12_GLOBAL__N_136reflection_pad3d_backward_out_kernelIfEEvN5torch10headeronly6detail27GenericPackedTensorAccessorINS5_14TensorAccessorIN3c108ArrayRefIlEET_Lm4ENS4_16DefaultPtrTraitsElEENS_6detail16IndexBoundsCheckILm5ElEESB_Lm5ESC_lEENS6_INS7_ISA_KSB_Lm4ESC_lEESG_SI_Lm5ESC_lEElllll,@function
_ZN2at6native12_GLOBAL__N_136reflection_pad3d_backward_out_kernelIfEEvN5torch10headeronly6detail27GenericPackedTensorAccessorINS5_14TensorAccessorIN3c108ArrayRefIlEET_Lm4ENS4_16DefaultPtrTraitsElEENS_6detail16IndexBoundsCheckILm5ElEESB_Lm5ESC_lEENS6_INS7_ISA_KSB_Lm4ESC_lEESG_SI_Lm5ESC_lEElllll: ; @_ZN2at6native12_GLOBAL__N_136reflection_pad3d_backward_out_kernelIfEEvN5torch10headeronly6detail27GenericPackedTensorAccessorINS5_14TensorAccessorIN3c108ArrayRefIlEET_Lm4ENS4_16DefaultPtrTraitsElEENS_6detail16IndexBoundsCheckILm5ElEESB_Lm5ESC_lEENS6_INS7_ISA_KSB_Lm4ESC_lEESG_SI_Lm5ESC_lEElllll
; %bb.0:
	s_load_dword s0, s[4:5], 0xe4
	s_load_dwordx4 s[12:15], s[4:5], 0x70
	s_load_dwordx2 s[10:11], s[4:5], 0x80
	v_mov_b32_e32 v2, 0
	v_mov_b32_e32 v1, v2
	s_waitcnt lgkmcnt(0)
	s_and_b32 s0, s0, 0xffff
	v_mov_b32_e32 v3, s6
	v_mad_u64_u32 v[0:1], s[0:1], s0, v3, v[0:1]
	s_mul_i32 s0, s10, s15
	s_mul_hi_u32 s1, s10, s14
	s_add_i32 s9, s1, s0
	s_mul_i32 s0, s11, s14
	s_mul_i32 s6, s10, s14
	s_add_i32 s9, s9, s0
	s_mul_i32 s0, s6, s13
	s_mul_hi_u32 s1, s6, s12
	s_add_i32 s0, s1, s0
	s_mul_i32 s1, s9, s12
	s_add_i32 s1, s0, s1
	s_mul_i32 s0, s6, s12
	v_cmp_gt_i64_e32 vcc, s[0:1], v[0:1]
	s_and_saveexec_b64 s[0:1], vcc
	s_cbranch_execz .LBB69_14
; %bb.1:
	v_or_b32_e32 v3, s11, v1
	v_cmp_ne_u64_e32 vcc, 0, v[2:3]
                                        ; implicit-def: $vgpr4_vgpr5
	s_and_saveexec_b64 s[0:1], vcc
	s_xor_b64 s[2:3], exec, s[0:1]
	s_cbranch_execz .LBB69_3
; %bb.2:
	s_ashr_i32 s12, s11, 31
	s_add_u32 s0, s10, s12
	s_mov_b32 s13, s12
	s_addc_u32 s1, s11, s12
	s_xor_b64 s[16:17], s[0:1], s[12:13]
	v_cvt_f32_u32_e32 v2, s16
	v_cvt_f32_u32_e32 v3, s17
	s_sub_u32 s0, 0, s16
	s_subb_u32 s1, 0, s17
	v_madmk_f32 v2, v3, 0x4f800000, v2
	v_rcp_f32_e32 v2, v2
	v_mul_f32_e32 v2, 0x5f7ffffc, v2
	v_mul_f32_e32 v3, 0x2f800000, v2
	v_trunc_f32_e32 v3, v3
	v_madmk_f32 v2, v3, 0xcf800000, v2
	v_cvt_u32_f32_e32 v3, v3
	v_cvt_u32_f32_e32 v2, v2
	v_mul_lo_u32 v4, s0, v3
	v_mul_hi_u32 v6, s0, v2
	v_mul_lo_u32 v5, s1, v2
	v_add_u32_e32 v4, v6, v4
	v_mul_lo_u32 v7, s0, v2
	v_add_u32_e32 v4, v4, v5
	v_mul_lo_u32 v6, v2, v4
	v_mul_hi_u32 v8, v2, v7
	v_mul_hi_u32 v5, v2, v4
	v_add_co_u32_e32 v6, vcc, v8, v6
	v_addc_co_u32_e32 v5, vcc, 0, v5, vcc
	v_mul_hi_u32 v9, v3, v7
	v_mul_lo_u32 v7, v3, v7
	v_add_co_u32_e32 v6, vcc, v6, v7
	v_mul_hi_u32 v8, v3, v4
	v_addc_co_u32_e32 v5, vcc, v5, v9, vcc
	v_addc_co_u32_e32 v6, vcc, 0, v8, vcc
	v_mul_lo_u32 v4, v3, v4
	v_add_co_u32_e32 v4, vcc, v5, v4
	v_addc_co_u32_e32 v5, vcc, 0, v6, vcc
	v_add_co_u32_e32 v2, vcc, v2, v4
	v_addc_co_u32_e32 v3, vcc, v3, v5, vcc
	v_mul_lo_u32 v4, s0, v3
	v_mul_hi_u32 v5, s0, v2
	v_add_u32_e32 v4, v5, v4
	v_mul_lo_u32 v5, s1, v2
	v_add_u32_e32 v4, v4, v5
	v_mul_lo_u32 v6, s0, v2
	v_mul_hi_u32 v7, v3, v6
	v_mul_lo_u32 v8, v3, v6
	v_mul_lo_u32 v10, v2, v4
	v_mul_hi_u32 v6, v2, v6
	v_mul_hi_u32 v9, v2, v4
	v_add_co_u32_e32 v6, vcc, v6, v10
	v_addc_co_u32_e32 v9, vcc, 0, v9, vcc
	v_add_co_u32_e32 v6, vcc, v6, v8
	v_mul_hi_u32 v5, v3, v4
	v_addc_co_u32_e32 v6, vcc, v9, v7, vcc
	v_addc_co_u32_e32 v5, vcc, 0, v5, vcc
	v_mul_lo_u32 v4, v3, v4
	v_add_co_u32_e32 v4, vcc, v6, v4
	v_addc_co_u32_e32 v5, vcc, 0, v5, vcc
	v_add_co_u32_e32 v4, vcc, v2, v4
	v_addc_co_u32_e32 v5, vcc, v3, v5, vcc
	v_ashrrev_i32_e32 v6, 31, v1
	v_add_co_u32_e32 v2, vcc, v0, v6
	v_addc_co_u32_e32 v3, vcc, v1, v6, vcc
	v_xor_b32_e32 v8, v2, v6
	v_xor_b32_e32 v7, v3, v6
	v_mad_u64_u32 v[2:3], s[0:1], v8, v5, 0
	v_mul_hi_u32 v9, v8, v4
	v_add_co_u32_e32 v9, vcc, v9, v2
	v_addc_co_u32_e32 v10, vcc, 0, v3, vcc
	v_mad_u64_u32 v[2:3], s[0:1], v7, v5, 0
	v_mad_u64_u32 v[4:5], s[0:1], v7, v4, 0
	v_add_co_u32_e32 v4, vcc, v9, v4
	v_addc_co_u32_e32 v4, vcc, v10, v5, vcc
	v_addc_co_u32_e32 v3, vcc, 0, v3, vcc
	v_add_co_u32_e32 v4, vcc, v4, v2
	v_addc_co_u32_e32 v5, vcc, 0, v3, vcc
	v_mul_lo_u32 v9, s17, v4
	v_mul_lo_u32 v10, s16, v5
	v_mad_u64_u32 v[2:3], s[0:1], s16, v4, 0
	v_add3_u32 v3, v3, v10, v9
	v_sub_u32_e32 v9, v7, v3
	v_mov_b32_e32 v10, s17
	v_sub_co_u32_e32 v2, vcc, v8, v2
	v_subb_co_u32_e64 v8, s[0:1], v9, v10, vcc
	v_subrev_co_u32_e64 v9, s[0:1], s16, v2
	v_subbrev_co_u32_e64 v8, s[0:1], 0, v8, s[0:1]
	v_cmp_le_u32_e64 s[0:1], s17, v8
	v_cndmask_b32_e64 v10, 0, -1, s[0:1]
	v_cmp_le_u32_e64 s[0:1], s16, v9
	v_cndmask_b32_e64 v9, 0, -1, s[0:1]
	v_cmp_eq_u32_e64 s[0:1], s17, v8
	v_cndmask_b32_e64 v8, v10, v9, s[0:1]
	v_add_co_u32_e64 v9, s[0:1], 2, v4
	v_subb_co_u32_e32 v3, vcc, v7, v3, vcc
	v_addc_co_u32_e64 v10, s[0:1], 0, v5, s[0:1]
	v_cmp_le_u32_e32 vcc, s17, v3
	v_add_co_u32_e64 v11, s[0:1], 1, v4
	v_cndmask_b32_e64 v7, 0, -1, vcc
	v_cmp_le_u32_e32 vcc, s16, v2
	v_addc_co_u32_e64 v12, s[0:1], 0, v5, s[0:1]
	v_cndmask_b32_e64 v2, 0, -1, vcc
	v_cmp_eq_u32_e32 vcc, s17, v3
	v_cmp_ne_u32_e64 s[0:1], 0, v8
	v_cndmask_b32_e32 v2, v7, v2, vcc
	v_cndmask_b32_e64 v8, v12, v10, s[0:1]
	v_cmp_ne_u32_e32 vcc, 0, v2
	v_cndmask_b32_e64 v3, v11, v9, s[0:1]
	v_cndmask_b32_e32 v2, v5, v8, vcc
	v_cndmask_b32_e32 v3, v4, v3, vcc
	v_xor_b32_e32 v5, s12, v6
	v_xor_b32_e32 v3, v3, v5
	;; [unrolled: 1-line block ×3, first 2 shown]
	v_sub_co_u32_e32 v4, vcc, v3, v5
	v_subb_co_u32_e32 v5, vcc, v2, v5, vcc
.LBB69_3:
	s_andn2_saveexec_b64 s[0:1], s[2:3]
	s_cbranch_execz .LBB69_5
; %bb.4:
	v_cvt_f32_u32_e32 v2, s10
	s_sub_i32 s2, 0, s10
	v_rcp_iflag_f32_e32 v2, v2
	v_mul_f32_e32 v2, 0x4f7ffffe, v2
	v_cvt_u32_f32_e32 v2, v2
	v_mul_lo_u32 v3, s2, v2
	v_mul_hi_u32 v3, v2, v3
	v_add_u32_e32 v2, v2, v3
	v_mul_hi_u32 v2, v0, v2
	v_mul_lo_u32 v3, v2, s10
	v_sub_u32_e32 v3, v0, v3
	v_add_u32_e32 v4, 1, v2
	v_subrev_u32_e32 v5, s10, v3
	v_cmp_le_u32_e32 vcc, s10, v3
	v_cndmask_b32_e32 v3, v3, v5, vcc
	v_cndmask_b32_e32 v2, v2, v4, vcc
	v_add_u32_e32 v4, 1, v2
	v_cmp_le_u32_e32 vcc, s10, v3
	v_cndmask_b32_e32 v4, v2, v4, vcc
	v_mov_b32_e32 v5, 0
.LBB69_5:
	s_or_b64 exec, exec, s[0:1]
	v_or_b32_e32 v3, s15, v5
	v_mov_b32_e32 v2, 0
	v_cmp_ne_u64_e32 vcc, 0, v[2:3]
                                        ; implicit-def: $vgpr2_vgpr3
	s_and_saveexec_b64 s[0:1], vcc
	s_xor_b64 s[12:13], exec, s[0:1]
	s_cbranch_execz .LBB69_7
; %bb.6:
	s_ashr_i32 s0, s15, 31
	s_add_u32 s2, s14, s0
	s_mov_b32 s1, s0
	s_addc_u32 s3, s15, s0
	s_xor_b64 s[16:17], s[2:3], s[0:1]
	v_cvt_f32_u32_e32 v2, s16
	v_cvt_f32_u32_e32 v3, s17
	s_sub_u32 s0, 0, s16
	s_subb_u32 s1, 0, s17
	v_madmk_f32 v2, v3, 0x4f800000, v2
	v_rcp_f32_e32 v2, v2
	v_mul_f32_e32 v2, 0x5f7ffffc, v2
	v_mul_f32_e32 v3, 0x2f800000, v2
	v_trunc_f32_e32 v3, v3
	v_madmk_f32 v2, v3, 0xcf800000, v2
	v_cvt_u32_f32_e32 v3, v3
	v_cvt_u32_f32_e32 v2, v2
	v_mul_lo_u32 v6, s0, v3
	v_mul_hi_u32 v8, s0, v2
	v_mul_lo_u32 v7, s1, v2
	v_add_u32_e32 v6, v8, v6
	v_mul_lo_u32 v9, s0, v2
	v_add_u32_e32 v6, v6, v7
	v_mul_lo_u32 v8, v2, v6
	v_mul_hi_u32 v10, v2, v9
	v_mul_hi_u32 v7, v2, v6
	v_add_co_u32_e32 v8, vcc, v10, v8
	v_addc_co_u32_e32 v7, vcc, 0, v7, vcc
	v_mul_hi_u32 v11, v3, v9
	v_mul_lo_u32 v9, v3, v9
	v_add_co_u32_e32 v8, vcc, v8, v9
	v_mul_hi_u32 v10, v3, v6
	v_addc_co_u32_e32 v7, vcc, v7, v11, vcc
	v_addc_co_u32_e32 v8, vcc, 0, v10, vcc
	v_mul_lo_u32 v6, v3, v6
	v_add_co_u32_e32 v6, vcc, v7, v6
	v_addc_co_u32_e32 v7, vcc, 0, v8, vcc
	v_add_co_u32_e32 v2, vcc, v2, v6
	v_addc_co_u32_e32 v3, vcc, v3, v7, vcc
	v_mul_lo_u32 v6, s0, v3
	v_mul_hi_u32 v7, s0, v2
	v_add_u32_e32 v6, v7, v6
	v_mul_lo_u32 v7, s1, v2
	v_add_u32_e32 v6, v6, v7
	v_mul_lo_u32 v8, s0, v2
	v_mul_hi_u32 v9, v3, v8
	v_mul_lo_u32 v10, v3, v8
	v_mul_lo_u32 v12, v2, v6
	v_mul_hi_u32 v8, v2, v8
	v_mul_hi_u32 v11, v2, v6
	v_add_co_u32_e32 v8, vcc, v8, v12
	v_addc_co_u32_e32 v11, vcc, 0, v11, vcc
	v_add_co_u32_e32 v8, vcc, v8, v10
	v_mul_hi_u32 v7, v3, v6
	v_addc_co_u32_e32 v8, vcc, v11, v9, vcc
	v_addc_co_u32_e32 v7, vcc, 0, v7, vcc
	v_mul_lo_u32 v6, v3, v6
	v_add_co_u32_e32 v6, vcc, v8, v6
	v_addc_co_u32_e32 v7, vcc, 0, v7, vcc
	v_add_co_u32_e32 v6, vcc, v2, v6
	v_addc_co_u32_e32 v7, vcc, v3, v7, vcc
	v_ashrrev_i32_e32 v8, 31, v5
	v_add_co_u32_e32 v2, vcc, v4, v8
	v_addc_co_u32_e32 v3, vcc, v5, v8, vcc
	v_xor_b32_e32 v10, v2, v8
	v_xor_b32_e32 v9, v3, v8
	v_mad_u64_u32 v[2:3], s[0:1], v10, v7, 0
	v_mul_hi_u32 v11, v10, v6
	v_add_co_u32_e32 v11, vcc, v11, v2
	v_addc_co_u32_e32 v12, vcc, 0, v3, vcc
	v_mad_u64_u32 v[2:3], s[0:1], v9, v7, 0
	v_mad_u64_u32 v[6:7], s[0:1], v9, v6, 0
	v_add_co_u32_e32 v6, vcc, v11, v6
	v_addc_co_u32_e32 v6, vcc, v12, v7, vcc
	v_addc_co_u32_e32 v3, vcc, 0, v3, vcc
	v_add_co_u32_e32 v2, vcc, v6, v2
	v_addc_co_u32_e32 v3, vcc, 0, v3, vcc
	v_mul_lo_u32 v6, s17, v2
	v_mul_lo_u32 v7, s16, v3
	v_mad_u64_u32 v[2:3], s[0:1], s16, v2, 0
	v_add3_u32 v3, v3, v7, v6
	v_sub_u32_e32 v6, v9, v3
	v_mov_b32_e32 v7, s17
	v_sub_co_u32_e32 v2, vcc, v10, v2
	v_subb_co_u32_e64 v6, s[0:1], v6, v7, vcc
	v_subrev_co_u32_e64 v10, s[0:1], s16, v2
	v_subbrev_co_u32_e64 v11, s[2:3], 0, v6, s[0:1]
	v_cmp_le_u32_e64 s[2:3], s17, v11
	v_cndmask_b32_e64 v12, 0, -1, s[2:3]
	v_cmp_le_u32_e64 s[2:3], s16, v10
	v_subb_co_u32_e64 v6, s[0:1], v6, v7, s[0:1]
	v_cndmask_b32_e64 v13, 0, -1, s[2:3]
	v_cmp_eq_u32_e64 s[2:3], s17, v11
	v_subrev_co_u32_e64 v7, s[0:1], s16, v10
	v_subb_co_u32_e32 v3, vcc, v9, v3, vcc
	v_cndmask_b32_e64 v12, v12, v13, s[2:3]
	v_subbrev_co_u32_e64 v6, s[0:1], 0, v6, s[0:1]
	v_cmp_le_u32_e32 vcc, s17, v3
	v_cmp_ne_u32_e64 s[0:1], 0, v12
	v_cndmask_b32_e64 v9, 0, -1, vcc
	v_cmp_le_u32_e32 vcc, s16, v2
	v_cndmask_b32_e64 v6, v11, v6, s[0:1]
	v_cndmask_b32_e64 v11, 0, -1, vcc
	v_cmp_eq_u32_e32 vcc, s17, v3
	v_cndmask_b32_e32 v9, v9, v11, vcc
	v_cmp_ne_u32_e32 vcc, 0, v9
	v_cndmask_b32_e32 v3, v3, v6, vcc
	v_cndmask_b32_e64 v6, v10, v7, s[0:1]
	v_cndmask_b32_e32 v2, v2, v6, vcc
	v_xor_b32_e32 v2, v2, v8
	v_xor_b32_e32 v3, v3, v8
	v_sub_co_u32_e32 v2, vcc, v2, v8
	v_subb_co_u32_e32 v3, vcc, v3, v8, vcc
.LBB69_7:
	s_or_saveexec_b64 s[0:1], s[12:13]
	s_load_dwordx2 s[28:29], s[4:5], 0xa8
	s_load_dwordx8 s[36:43], s[4:5], 0x88
	s_xor_b64 exec, exec, s[0:1]
	s_cbranch_execz .LBB69_9
; %bb.8:
	v_cvt_f32_u32_e32 v2, s14
	s_sub_i32 s2, 0, s14
	v_rcp_iflag_f32_e32 v2, v2
	v_mul_f32_e32 v2, 0x4f7ffffe, v2
	v_cvt_u32_f32_e32 v2, v2
	v_mul_lo_u32 v3, s2, v2
	v_mul_hi_u32 v3, v2, v3
	v_add_u32_e32 v2, v2, v3
	v_mul_hi_u32 v2, v4, v2
	v_mul_lo_u32 v2, v2, s14
	v_sub_u32_e32 v2, v4, v2
	v_subrev_u32_e32 v3, s14, v2
	v_cmp_le_u32_e32 vcc, s14, v2
	v_cndmask_b32_e32 v2, v2, v3, vcc
	v_subrev_u32_e32 v3, s14, v2
	v_cmp_le_u32_e32 vcc, s14, v2
	v_cndmask_b32_e32 v2, v2, v3, vcc
	v_mov_b32_e32 v3, 0
.LBB69_9:
	s_or_b64 exec, exec, s[0:1]
	s_load_dwordx2 s[30:31], s[4:5], 0x58
	s_load_dwordx2 s[2:3], s[4:5], 0x0
	v_or_b32_e32 v7, s9, v1
	v_mov_b32_e32 v6, 0
	v_cmp_ne_u64_e32 vcc, 0, v[6:7]
                                        ; implicit-def: $vgpr6_vgpr7
	s_and_saveexec_b64 s[0:1], vcc
	s_xor_b64 s[12:13], exec, s[0:1]
	s_cbranch_execz .LBB69_11
; %bb.10:
	s_ashr_i32 s14, s9, 31
	s_add_u32 s0, s6, s14
	s_mov_b32 s15, s14
	s_addc_u32 s1, s9, s14
	s_xor_b64 s[16:17], s[0:1], s[14:15]
	v_cvt_f32_u32_e32 v6, s16
	v_cvt_f32_u32_e32 v7, s17
	s_sub_u32 s0, 0, s16
	s_subb_u32 s1, 0, s17
	v_madmk_f32 v6, v7, 0x4f800000, v6
	v_rcp_f32_e32 v6, v6
	v_mul_f32_e32 v6, 0x5f7ffffc, v6
	v_mul_f32_e32 v7, 0x2f800000, v6
	v_trunc_f32_e32 v7, v7
	v_madmk_f32 v6, v7, 0xcf800000, v6
	v_cvt_u32_f32_e32 v7, v7
	v_cvt_u32_f32_e32 v6, v6
	v_mul_lo_u32 v8, s0, v7
	v_mul_hi_u32 v10, s0, v6
	v_mul_lo_u32 v9, s1, v6
	v_add_u32_e32 v8, v10, v8
	v_mul_lo_u32 v11, s0, v6
	v_add_u32_e32 v8, v8, v9
	v_mul_lo_u32 v10, v6, v8
	v_mul_hi_u32 v12, v6, v11
	v_mul_hi_u32 v9, v6, v8
	v_add_co_u32_e32 v10, vcc, v12, v10
	v_addc_co_u32_e32 v9, vcc, 0, v9, vcc
	v_mul_hi_u32 v13, v7, v11
	v_mul_lo_u32 v11, v7, v11
	v_add_co_u32_e32 v10, vcc, v10, v11
	v_mul_hi_u32 v12, v7, v8
	v_addc_co_u32_e32 v9, vcc, v9, v13, vcc
	v_addc_co_u32_e32 v10, vcc, 0, v12, vcc
	v_mul_lo_u32 v8, v7, v8
	v_add_co_u32_e32 v8, vcc, v9, v8
	v_addc_co_u32_e32 v9, vcc, 0, v10, vcc
	v_add_co_u32_e32 v6, vcc, v6, v8
	v_addc_co_u32_e32 v7, vcc, v7, v9, vcc
	v_mul_lo_u32 v8, s0, v7
	v_mul_hi_u32 v9, s0, v6
	v_add_u32_e32 v8, v9, v8
	v_mul_lo_u32 v9, s1, v6
	v_add_u32_e32 v8, v8, v9
	v_mul_lo_u32 v10, s0, v6
	v_mul_hi_u32 v11, v7, v10
	v_mul_lo_u32 v12, v7, v10
	v_mul_lo_u32 v14, v6, v8
	v_mul_hi_u32 v10, v6, v10
	v_mul_hi_u32 v13, v6, v8
	v_add_co_u32_e32 v10, vcc, v10, v14
	v_addc_co_u32_e32 v13, vcc, 0, v13, vcc
	v_add_co_u32_e32 v10, vcc, v10, v12
	v_mul_hi_u32 v9, v7, v8
	v_addc_co_u32_e32 v10, vcc, v13, v11, vcc
	v_addc_co_u32_e32 v9, vcc, 0, v9, vcc
	v_mul_lo_u32 v8, v7, v8
	v_add_co_u32_e32 v8, vcc, v10, v8
	v_addc_co_u32_e32 v9, vcc, 0, v9, vcc
	v_add_co_u32_e32 v8, vcc, v6, v8
	v_addc_co_u32_e32 v9, vcc, v7, v9, vcc
	v_ashrrev_i32_e32 v10, 31, v1
	v_add_co_u32_e32 v6, vcc, v0, v10
	v_addc_co_u32_e32 v7, vcc, v1, v10, vcc
	v_xor_b32_e32 v12, v6, v10
	v_xor_b32_e32 v11, v7, v10
	v_mad_u64_u32 v[6:7], s[0:1], v12, v9, 0
	v_mul_hi_u32 v13, v12, v8
	v_add_co_u32_e32 v13, vcc, v13, v6
	v_addc_co_u32_e32 v14, vcc, 0, v7, vcc
	v_mad_u64_u32 v[6:7], s[0:1], v11, v9, 0
	v_mad_u64_u32 v[8:9], s[0:1], v11, v8, 0
	v_add_co_u32_e32 v8, vcc, v13, v8
	v_addc_co_u32_e32 v8, vcc, v14, v9, vcc
	v_addc_co_u32_e32 v7, vcc, 0, v7, vcc
	v_add_co_u32_e32 v8, vcc, v8, v6
	v_addc_co_u32_e32 v9, vcc, 0, v7, vcc
	v_mul_lo_u32 v13, s17, v8
	v_mul_lo_u32 v14, s16, v9
	v_mad_u64_u32 v[6:7], s[0:1], s16, v8, 0
	v_add3_u32 v7, v7, v14, v13
	v_sub_u32_e32 v13, v11, v7
	v_mov_b32_e32 v14, s17
	v_sub_co_u32_e32 v6, vcc, v12, v6
	v_subb_co_u32_e64 v12, s[0:1], v13, v14, vcc
	v_subrev_co_u32_e64 v13, s[0:1], s16, v6
	v_subbrev_co_u32_e64 v12, s[0:1], 0, v12, s[0:1]
	v_cmp_le_u32_e64 s[0:1], s17, v12
	v_cndmask_b32_e64 v14, 0, -1, s[0:1]
	v_cmp_le_u32_e64 s[0:1], s16, v13
	v_cndmask_b32_e64 v13, 0, -1, s[0:1]
	v_cmp_eq_u32_e64 s[0:1], s17, v12
	v_cndmask_b32_e64 v12, v14, v13, s[0:1]
	v_add_co_u32_e64 v13, s[0:1], 2, v8
	v_subb_co_u32_e32 v7, vcc, v11, v7, vcc
	v_addc_co_u32_e64 v14, s[0:1], 0, v9, s[0:1]
	v_cmp_le_u32_e32 vcc, s17, v7
	v_add_co_u32_e64 v15, s[0:1], 1, v8
	v_cndmask_b32_e64 v11, 0, -1, vcc
	v_cmp_le_u32_e32 vcc, s16, v6
	v_addc_co_u32_e64 v16, s[0:1], 0, v9, s[0:1]
	v_cndmask_b32_e64 v6, 0, -1, vcc
	v_cmp_eq_u32_e32 vcc, s17, v7
	v_cmp_ne_u32_e64 s[0:1], 0, v12
	v_cndmask_b32_e32 v6, v11, v6, vcc
	v_cndmask_b32_e64 v12, v16, v14, s[0:1]
	v_cmp_ne_u32_e32 vcc, 0, v6
	v_cndmask_b32_e64 v7, v15, v13, s[0:1]
	v_cndmask_b32_e32 v6, v9, v12, vcc
	v_cndmask_b32_e32 v7, v8, v7, vcc
	v_xor_b32_e32 v8, s14, v10
	v_xor_b32_e32 v9, v6, v8
	;; [unrolled: 1-line block ×3, first 2 shown]
	v_sub_co_u32_e32 v6, vcc, v6, v8
	v_subb_co_u32_e32 v7, vcc, v9, v8, vcc
.LBB69_11:
	s_or_saveexec_b64 s[0:1], s[12:13]
	s_load_dwordx16 s[12:27], s[4:5], 0x18
	s_xor_b64 exec, exec, s[0:1]
	s_cbranch_execz .LBB69_13
; %bb.12:
	v_cvt_f32_u32_e32 v6, s6
	s_sub_i32 s9, 0, s6
	v_rcp_iflag_f32_e32 v6, v6
	v_mul_f32_e32 v6, 0x4f7ffffe, v6
	v_cvt_u32_f32_e32 v6, v6
	v_mul_lo_u32 v7, s9, v6
	v_mul_hi_u32 v7, v6, v7
	v_add_u32_e32 v6, v6, v7
	v_mul_hi_u32 v6, v0, v6
	v_mul_lo_u32 v7, v6, s6
	v_sub_u32_e32 v7, v0, v7
	v_add_u32_e32 v8, 1, v6
	v_subrev_u32_e32 v9, s6, v7
	v_cmp_le_u32_e32 vcc, s6, v7
	v_cndmask_b32_e32 v7, v7, v9, vcc
	v_cndmask_b32_e32 v6, v6, v8, vcc
	v_add_u32_e32 v8, 1, v6
	v_cmp_le_u32_e32 vcc, s6, v7
	v_cndmask_b32_e32 v6, v6, v8, vcc
	v_mov_b32_e32 v7, 0
.LBB69_13:
	s_or_b64 exec, exec, s[0:1]
	s_load_dwordx8 s[44:51], s[4:5], 0xb0
	v_mul_lo_u32 v8, v5, s10
	v_mul_lo_u32 v9, v4, s11
	v_mad_u64_u32 v[4:5], s[0:1], v4, s10, 0
	s_load_dwordx2 s[0:1], s[4:5], 0xd0
	s_waitcnt lgkmcnt(0)
	s_sub_u32 s4, 0, s44
	s_subb_u32 s5, 0, s45
	s_sub_u32 s10, 0, s46
	s_subb_u32 s11, 0, s47
	;; [unrolled: 2-line block ×3, first 2 shown]
	v_cmp_gt_i64_e64 s[52:53], s[4:5], 0
	s_and_b64 s[52:53], s[52:53], exec
	s_cselect_b32 s6, s5, 0
	s_cselect_b32 s9, s4, 0
	v_cmp_gt_i64_e64 s[4:5], s[44:45], 0
	s_and_b64 s[4:5], s[4:5], exec
	v_cmp_gt_i64_e64 s[4:5], s[10:11], 0
	s_cselect_b32 s53, s45, 0
	s_cselect_b32 s52, s44, 0
	s_and_b64 s[4:5], s[4:5], exec
	v_add3_u32 v5, v5, v9, v8
	v_sub_co_u32_e32 v4, vcc, v0, v4
	v_cmp_gt_i64_e64 s[4:5], s[46:47], 0
	v_subb_co_u32_e32 v5, vcc, v1, v5, vcc
	s_cselect_b32 s33, s11, 0
	s_cselect_b32 s54, s10, 0
	s_and_b64 s[4:5], s[4:5], exec
	v_cmp_gt_i64_e64 s[4:5], s[34:35], 0
	v_mov_b32_e32 v1, s45
	v_subrev_co_u32_e32 v0, vcc, s44, v4
	s_cselect_b32 s11, s47, 0
	s_cselect_b32 s10, s46, 0
	s_and_b64 s[4:5], s[4:5], exec
	v_subb_co_u32_e32 v1, vcc, v5, v1, vcc
	v_cmp_gt_i64_e64 s[4:5], s[48:49], 0
	v_ashrrev_i32_e32 v8, 31, v1
	s_cselect_b32 s55, s35, 0
	s_cselect_b32 s56, s34, 0
	s_and_b64 s[4:5], s[4:5], exec
	v_xor_b32_e32 v0, v0, v8
	s_cselect_b32 s5, s49, 0
	s_cselect_b32 s4, s48, 0
	v_xor_b32_e32 v1, v1, v8
	v_sub_co_u32_e32 v9, vcc, v0, v8
	s_add_u32 s34, s16, s44
	v_subb_co_u32_e32 v8, vcc, v1, v8, vcc
	s_addc_u32 s35, s17, s45
	v_mov_b32_e32 v1, s35
	v_subrev_co_u32_e32 v0, vcc, s34, v4
	v_subb_co_u32_e32 v1, vcc, v5, v1, vcc
	v_add_co_u32_e32 v0, vcc, 1, v0
	v_addc_co_u32_e32 v1, vcc, 0, v1, vcc
	s_lshl_b64 s[34:35], s[44:45], 1
	s_not_b64 s[44:45], s[52:53]
	v_ashrrev_i32_e32 v10, 31, v1
	s_add_u32 s34, s34, s44
	v_xor_b32_e32 v0, v0, v10
	s_addc_u32 s35, s35, s45
	v_xor_b32_e32 v1, v1, v10
	v_sub_co_u32_e32 v0, vcc, v0, v10
	s_add_u32 s9, s34, s9
	v_subb_co_u32_e32 v1, vcc, v1, v10, vcc
	s_addc_u32 s6, s35, s6
	s_add_u32 s9, s9, s16
	v_add_co_u32_e32 v0, vcc, v4, v0
	s_addc_u32 s6, s6, s17
	v_addc_co_u32_e32 v1, vcc, v5, v1, vcc
	v_mov_b32_e32 v10, s6
	v_sub_co_u32_e32 v0, vcc, s9, v0
	v_subb_co_u32_e32 v1, vcc, v10, v1, vcc
	v_add_co_u32_e32 v9, vcc, v0, v9
	v_addc_co_u32_e32 v8, vcc, v1, v8, vcc
	v_mov_b32_e32 v0, s47
	v_subrev_co_u32_e32 v1, vcc, s46, v2
	v_subb_co_u32_e32 v0, vcc, v3, v0, vcc
	v_ashrrev_i32_e32 v10, 31, v0
	v_xor_b32_e32 v1, v1, v10
	v_xor_b32_e32 v0, v0, v10
	v_sub_co_u32_e32 v1, vcc, v1, v10
	s_add_u32 s6, s14, s46
	v_subb_co_u32_e32 v0, vcc, v0, v10, vcc
	s_addc_u32 s9, s15, s47
	v_mov_b32_e32 v10, s9
	v_subrev_co_u32_e32 v11, vcc, s6, v2
	v_subb_co_u32_e32 v10, vcc, v3, v10, vcc
	v_add_co_u32_e32 v11, vcc, 1, v11
	v_addc_co_u32_e32 v10, vcc, 0, v10, vcc
	s_lshl_b64 s[16:17], s[46:47], 1
	s_not_b64 s[10:11], s[10:11]
	v_ashrrev_i32_e32 v12, 31, v10
	s_add_u32 s6, s16, s10
	v_xor_b32_e32 v11, v11, v12
	s_addc_u32 s9, s17, s11
	v_xor_b32_e32 v10, v10, v12
	v_sub_co_u32_e32 v11, vcc, v11, v12
	s_add_u32 s6, s6, s54
	v_subb_co_u32_e32 v10, vcc, v10, v12, vcc
	s_addc_u32 s9, s9, s33
	s_add_u32 s6, s6, s14
	v_add_co_u32_e32 v11, vcc, v2, v11
	s_addc_u32 s9, s9, s15
	v_addc_co_u32_e32 v10, vcc, v3, v10, vcc
	v_sub_co_u32_e32 v11, vcc, s6, v11
	s_add_u32 s6, s12, s48
	v_mov_b32_e32 v12, s9
	s_addc_u32 s9, s13, s49
	s_lshl_b64 s[10:11], s[48:49], 1
	s_not_b64 s[4:5], s[4:5]
	s_add_u32 s4, s10, s4
	s_addc_u32 s5, s11, s5
	s_add_u32 s4, s4, s56
	s_addc_u32 s5, s5, s55
	;; [unrolled: 2-line block ×5, first 2 shown]
	s_mul_i32 s0, s36, s11
	s_mul_hi_u32 s1, s36, s8
	s_add_i32 s0, s1, s0
	s_mul_i32 s1, s37, s8
	s_add_i32 s1, s0, s1
	s_mul_i32 s0, s36, s8
	s_lshl_b64 s[0:1], s[0:1], 2
	v_subb_co_u32_e32 v10, vcc, v12, v10, vcc
	s_add_u32 s12, s30, s0
	v_add_co_u32_e32 v11, vcc, v11, v1
	s_addc_u32 s13, s31, s1
	s_mul_i32 s0, s38, s10
	s_mul_hi_u32 s1, s38, s7
	v_addc_co_u32_e32 v10, vcc, v10, v0, vcc
	s_add_i32 s0, s1, s0
	s_mul_i32 s1, s39, s7
	v_mov_b32_e32 v0, s49
	v_subrev_co_u32_e32 v1, vcc, s48, v6
	s_add_i32 s1, s0, s1
	s_mul_i32 s0, s38, s7
	v_subb_co_u32_e32 v0, vcc, v7, v0, vcc
	s_lshl_b64 s[0:1], s[0:1], 2
	v_ashrrev_i32_e32 v12, 31, v0
	s_add_u32 s12, s12, s0
	v_xor_b32_e32 v13, v0, v12
	v_xor_b32_e32 v14, v1, v12
	s_addc_u32 s13, s13, s1
	v_mul_lo_u32 v15, v7, s40
	v_mul_lo_u32 v16, v6, s41
	v_mad_u64_u32 v[0:1], s[0:1], v6, s40, 0
	v_add3_u32 v1, v1, v16, v15
	v_lshlrev_b64 v[0:1], 2, v[0:1]
	v_mov_b32_e32 v15, s13
	v_add_co_u32_e32 v16, vcc, s12, v0
	v_addc_co_u32_e32 v15, vcc, v15, v1, vcc
	v_mul_lo_u32 v3, v3, s42
	v_mul_lo_u32 v17, v2, s43
	v_mad_u64_u32 v[0:1], s[0:1], v2, s42, 0
	v_add3_u32 v1, v1, v17, v3
	v_lshlrev_b64 v[0:1], 2, v[0:1]
	v_add_co_u32_e32 v2, vcc, v16, v0
	v_addc_co_u32_e32 v3, vcc, v15, v1, vcc
	v_mul_lo_u32 v5, v5, s28
	v_mul_lo_u32 v15, v4, s29
	v_mad_u64_u32 v[0:1], s[0:1], v4, s28, 0
	v_add3_u32 v1, v1, v15, v5
	v_lshlrev_b64 v[0:1], 2, v[0:1]
	v_add_co_u32_e32 v0, vcc, v2, v0
	v_addc_co_u32_e32 v1, vcc, v3, v1, vcc
	global_load_dword v2, v[0:1], off
	v_sub_co_u32_e32 v0, vcc, v14, v12
	v_subb_co_u32_e32 v1, vcc, v13, v12, vcc
	v_mov_b32_e32 v3, s9
	v_subrev_co_u32_e32 v4, vcc, s6, v6
	v_subb_co_u32_e32 v3, vcc, v7, v3, vcc
	v_add_co_u32_e32 v4, vcc, 1, v4
	v_addc_co_u32_e32 v3, vcc, 0, v3, vcc
	v_ashrrev_i32_e32 v5, 31, v3
	s_mul_i32 s0, s18, s11
	s_mul_hi_u32 s1, s18, s8
	v_xor_b32_e32 v4, v4, v5
	s_add_i32 s0, s1, s0
	s_mul_i32 s1, s19, s8
	v_xor_b32_e32 v3, v3, v5
	v_sub_co_u32_e32 v4, vcc, v4, v5
	s_add_i32 s1, s0, s1
	s_mul_i32 s0, s18, s8
	v_subb_co_u32_e32 v3, vcc, v3, v5, vcc
	s_lshl_b64 s[0:1], s[0:1], 2
	v_add_co_u32_e32 v4, vcc, v6, v4
	s_add_u32 s2, s2, s0
	v_addc_co_u32_e32 v3, vcc, v7, v3, vcc
	s_addc_u32 s3, s3, s1
	s_mul_i32 s0, s20, s10
	s_mul_hi_u32 s1, s20, s7
	v_mov_b32_e32 v5, s5
	v_sub_co_u32_e32 v4, vcc, s4, v4
	s_add_i32 s0, s1, s0
	s_mul_i32 s1, s21, s7
	v_subb_co_u32_e32 v3, vcc, v5, v3, vcc
	s_add_i32 s1, s0, s1
	s_mul_i32 s0, s20, s7
	v_add_co_u32_e32 v0, vcc, v4, v0
	s_lshl_b64 s[0:1], s[0:1], 2
	v_addc_co_u32_e32 v1, vcc, v3, v1, vcc
	s_add_u32 s2, s2, s0
	s_addc_u32 s3, s3, s1
	v_mul_lo_u32 v3, v1, s22
	v_mul_lo_u32 v4, v0, s23
	v_mad_u64_u32 v[0:1], s[0:1], v0, s22, 0
	v_add3_u32 v1, v1, v4, v3
	v_lshlrev_b64 v[0:1], 2, v[0:1]
	v_mov_b32_e32 v3, s3
	v_add_co_u32_e32 v4, vcc, s2, v0
	v_addc_co_u32_e32 v3, vcc, v3, v1, vcc
	v_mul_lo_u32 v5, v10, s24
	v_mul_lo_u32 v6, v11, s25
	v_mad_u64_u32 v[0:1], s[0:1], v11, s24, 0
	v_add3_u32 v1, v1, v6, v5
	v_lshlrev_b64 v[0:1], 2, v[0:1]
	v_add_co_u32_e32 v4, vcc, v4, v0
	v_addc_co_u32_e32 v3, vcc, v3, v1, vcc
	v_mul_lo_u32 v5, v8, s26
	v_mul_lo_u32 v6, v9, s27
	v_mad_u64_u32 v[0:1], s[0:1], v9, s26, 0
	v_add3_u32 v1, v1, v6, v5
	v_lshlrev_b64 v[0:1], 2, v[0:1]
	v_add_co_u32_e32 v0, vcc, v4, v0
	v_addc_co_u32_e32 v1, vcc, v3, v1, vcc
	s_waitcnt vmcnt(0)
	global_atomic_add_f32 v[0:1], v2, off
.LBB69_14:
	s_endpgm
	.section	.rodata,"a",@progbits
	.p2align	6, 0x0
	.amdhsa_kernel _ZN2at6native12_GLOBAL__N_136reflection_pad3d_backward_out_kernelIfEEvN5torch10headeronly6detail27GenericPackedTensorAccessorINS5_14TensorAccessorIN3c108ArrayRefIlEET_Lm4ENS4_16DefaultPtrTraitsElEENS_6detail16IndexBoundsCheckILm5ElEESB_Lm5ESC_lEENS6_INS7_ISA_KSB_Lm4ESC_lEESG_SI_Lm5ESC_lEElllll
		.amdhsa_group_segment_fixed_size 0
		.amdhsa_private_segment_fixed_size 0
		.amdhsa_kernarg_size 472
		.amdhsa_user_sgpr_count 6
		.amdhsa_user_sgpr_private_segment_buffer 1
		.amdhsa_user_sgpr_dispatch_ptr 0
		.amdhsa_user_sgpr_queue_ptr 0
		.amdhsa_user_sgpr_kernarg_segment_ptr 1
		.amdhsa_user_sgpr_dispatch_id 0
		.amdhsa_user_sgpr_flat_scratch_init 0
		.amdhsa_user_sgpr_kernarg_preload_length 0
		.amdhsa_user_sgpr_kernarg_preload_offset 0
		.amdhsa_user_sgpr_private_segment_size 0
		.amdhsa_uses_dynamic_stack 0
		.amdhsa_system_sgpr_private_segment_wavefront_offset 0
		.amdhsa_system_sgpr_workgroup_id_x 1
		.amdhsa_system_sgpr_workgroup_id_y 1
		.amdhsa_system_sgpr_workgroup_id_z 1
		.amdhsa_system_sgpr_workgroup_info 0
		.amdhsa_system_vgpr_workitem_id 0
		.amdhsa_next_free_vgpr 18
		.amdhsa_next_free_sgpr 57
		.amdhsa_accum_offset 20
		.amdhsa_reserve_vcc 1
		.amdhsa_reserve_flat_scratch 0
		.amdhsa_float_round_mode_32 0
		.amdhsa_float_round_mode_16_64 0
		.amdhsa_float_denorm_mode_32 3
		.amdhsa_float_denorm_mode_16_64 3
		.amdhsa_dx10_clamp 1
		.amdhsa_ieee_mode 1
		.amdhsa_fp16_overflow 0
		.amdhsa_tg_split 0
		.amdhsa_exception_fp_ieee_invalid_op 0
		.amdhsa_exception_fp_denorm_src 0
		.amdhsa_exception_fp_ieee_div_zero 0
		.amdhsa_exception_fp_ieee_overflow 0
		.amdhsa_exception_fp_ieee_underflow 0
		.amdhsa_exception_fp_ieee_inexact 0
		.amdhsa_exception_int_div_zero 0
	.end_amdhsa_kernel
	.section	.text._ZN2at6native12_GLOBAL__N_136reflection_pad3d_backward_out_kernelIfEEvN5torch10headeronly6detail27GenericPackedTensorAccessorINS5_14TensorAccessorIN3c108ArrayRefIlEET_Lm4ENS4_16DefaultPtrTraitsElEENS_6detail16IndexBoundsCheckILm5ElEESB_Lm5ESC_lEENS6_INS7_ISA_KSB_Lm4ESC_lEESG_SI_Lm5ESC_lEElllll,"axG",@progbits,_ZN2at6native12_GLOBAL__N_136reflection_pad3d_backward_out_kernelIfEEvN5torch10headeronly6detail27GenericPackedTensorAccessorINS5_14TensorAccessorIN3c108ArrayRefIlEET_Lm4ENS4_16DefaultPtrTraitsElEENS_6detail16IndexBoundsCheckILm5ElEESB_Lm5ESC_lEENS6_INS7_ISA_KSB_Lm4ESC_lEESG_SI_Lm5ESC_lEElllll,comdat
.Lfunc_end69:
	.size	_ZN2at6native12_GLOBAL__N_136reflection_pad3d_backward_out_kernelIfEEvN5torch10headeronly6detail27GenericPackedTensorAccessorINS5_14TensorAccessorIN3c108ArrayRefIlEET_Lm4ENS4_16DefaultPtrTraitsElEENS_6detail16IndexBoundsCheckILm5ElEESB_Lm5ESC_lEENS6_INS7_ISA_KSB_Lm4ESC_lEESG_SI_Lm5ESC_lEElllll, .Lfunc_end69-_ZN2at6native12_GLOBAL__N_136reflection_pad3d_backward_out_kernelIfEEvN5torch10headeronly6detail27GenericPackedTensorAccessorINS5_14TensorAccessorIN3c108ArrayRefIlEET_Lm4ENS4_16DefaultPtrTraitsElEENS_6detail16IndexBoundsCheckILm5ElEESB_Lm5ESC_lEENS6_INS7_ISA_KSB_Lm4ESC_lEESG_SI_Lm5ESC_lEElllll
                                        ; -- End function
	.section	.AMDGPU.csdata,"",@progbits
; Kernel info:
; codeLenInByte = 3680
; NumSgprs: 61
; NumVgprs: 18
; NumAgprs: 0
; TotalNumVgprs: 18
; ScratchSize: 0
; MemoryBound: 0
; FloatMode: 240
; IeeeMode: 1
; LDSByteSize: 0 bytes/workgroup (compile time only)
; SGPRBlocks: 7
; VGPRBlocks: 2
; NumSGPRsForWavesPerEU: 61
; NumVGPRsForWavesPerEU: 18
; AccumOffset: 20
; Occupancy: 8
; WaveLimiterHint : 0
; COMPUTE_PGM_RSRC2:SCRATCH_EN: 0
; COMPUTE_PGM_RSRC2:USER_SGPR: 6
; COMPUTE_PGM_RSRC2:TRAP_HANDLER: 0
; COMPUTE_PGM_RSRC2:TGID_X_EN: 1
; COMPUTE_PGM_RSRC2:TGID_Y_EN: 1
; COMPUTE_PGM_RSRC2:TGID_Z_EN: 1
; COMPUTE_PGM_RSRC2:TIDIG_COMP_CNT: 0
; COMPUTE_PGM_RSRC3_GFX90A:ACCUM_OFFSET: 4
; COMPUTE_PGM_RSRC3_GFX90A:TG_SPLIT: 0
	.section	.text._ZN2at6native12_GLOBAL__N_136reflection_pad3d_backward_out_kernelIN3c107complexIdEEEEvN5torch10headeronly6detail27GenericPackedTensorAccessorINS8_14TensorAccessorINS3_8ArrayRefIlEET_Lm4ENS7_16DefaultPtrTraitsElEENS_6detail16IndexBoundsCheckILm5ElEESD_Lm5ESE_lEENS9_INSA_ISC_KSD_Lm4ESE_lEESI_SK_Lm5ESE_lEElllll,"axG",@progbits,_ZN2at6native12_GLOBAL__N_136reflection_pad3d_backward_out_kernelIN3c107complexIdEEEEvN5torch10headeronly6detail27GenericPackedTensorAccessorINS8_14TensorAccessorINS3_8ArrayRefIlEET_Lm4ENS7_16DefaultPtrTraitsElEENS_6detail16IndexBoundsCheckILm5ElEESD_Lm5ESE_lEENS9_INSA_ISC_KSD_Lm4ESE_lEESI_SK_Lm5ESE_lEElllll,comdat
	.globl	_ZN2at6native12_GLOBAL__N_136reflection_pad3d_backward_out_kernelIN3c107complexIdEEEEvN5torch10headeronly6detail27GenericPackedTensorAccessorINS8_14TensorAccessorINS3_8ArrayRefIlEET_Lm4ENS7_16DefaultPtrTraitsElEENS_6detail16IndexBoundsCheckILm5ElEESD_Lm5ESE_lEENS9_INSA_ISC_KSD_Lm4ESE_lEESI_SK_Lm5ESE_lEElllll ; -- Begin function _ZN2at6native12_GLOBAL__N_136reflection_pad3d_backward_out_kernelIN3c107complexIdEEEEvN5torch10headeronly6detail27GenericPackedTensorAccessorINS8_14TensorAccessorINS3_8ArrayRefIlEET_Lm4ENS7_16DefaultPtrTraitsElEENS_6detail16IndexBoundsCheckILm5ElEESD_Lm5ESE_lEENS9_INSA_ISC_KSD_Lm4ESE_lEESI_SK_Lm5ESE_lEElllll
	.p2align	8
	.type	_ZN2at6native12_GLOBAL__N_136reflection_pad3d_backward_out_kernelIN3c107complexIdEEEEvN5torch10headeronly6detail27GenericPackedTensorAccessorINS8_14TensorAccessorINS3_8ArrayRefIlEET_Lm4ENS7_16DefaultPtrTraitsElEENS_6detail16IndexBoundsCheckILm5ElEESD_Lm5ESE_lEENS9_INSA_ISC_KSD_Lm4ESE_lEESI_SK_Lm5ESE_lEElllll,@function
_ZN2at6native12_GLOBAL__N_136reflection_pad3d_backward_out_kernelIN3c107complexIdEEEEvN5torch10headeronly6detail27GenericPackedTensorAccessorINS8_14TensorAccessorINS3_8ArrayRefIlEET_Lm4ENS7_16DefaultPtrTraitsElEENS_6detail16IndexBoundsCheckILm5ElEESD_Lm5ESE_lEENS9_INSA_ISC_KSD_Lm4ESE_lEESI_SK_Lm5ESE_lEElllll: ; @_ZN2at6native12_GLOBAL__N_136reflection_pad3d_backward_out_kernelIN3c107complexIdEEEEvN5torch10headeronly6detail27GenericPackedTensorAccessorINS8_14TensorAccessorINS3_8ArrayRefIlEET_Lm4ENS7_16DefaultPtrTraitsElEENS_6detail16IndexBoundsCheckILm5ElEESD_Lm5ESE_lEENS9_INSA_ISC_KSD_Lm4ESE_lEESI_SK_Lm5ESE_lEElllll
; %bb.0:
	s_load_dword s0, s[4:5], 0xe4
	s_load_dwordx4 s[12:15], s[4:5], 0x70
	s_load_dwordx2 s[10:11], s[4:5], 0x80
	v_mov_b32_e32 v2, 0
	v_mov_b32_e32 v1, v2
	s_waitcnt lgkmcnt(0)
	s_and_b32 s0, s0, 0xffff
	v_mov_b32_e32 v3, s6
	v_mad_u64_u32 v[0:1], s[0:1], s0, v3, v[0:1]
	s_mul_i32 s0, s10, s15
	s_mul_hi_u32 s1, s10, s14
	s_add_i32 s9, s1, s0
	s_mul_i32 s0, s11, s14
	s_mul_i32 s6, s10, s14
	s_add_i32 s9, s9, s0
	s_mul_i32 s0, s6, s13
	s_mul_hi_u32 s1, s6, s12
	s_add_i32 s0, s1, s0
	s_mul_i32 s1, s9, s12
	s_add_i32 s1, s0, s1
	s_mul_i32 s0, s6, s12
	v_cmp_gt_i64_e32 vcc, s[0:1], v[0:1]
	s_and_saveexec_b64 s[0:1], vcc
	s_cbranch_execz .LBB70_17
; %bb.1:
	v_or_b32_e32 v3, s11, v1
	v_cmp_ne_u64_e32 vcc, 0, v[2:3]
                                        ; implicit-def: $vgpr4_vgpr5
	s_and_saveexec_b64 s[0:1], vcc
	s_xor_b64 s[2:3], exec, s[0:1]
	s_cbranch_execz .LBB70_3
; %bb.2:
	s_ashr_i32 s12, s11, 31
	s_add_u32 s0, s10, s12
	s_mov_b32 s13, s12
	s_addc_u32 s1, s11, s12
	s_xor_b64 s[16:17], s[0:1], s[12:13]
	v_cvt_f32_u32_e32 v2, s16
	v_cvt_f32_u32_e32 v3, s17
	s_sub_u32 s0, 0, s16
	s_subb_u32 s1, 0, s17
	v_madmk_f32 v2, v3, 0x4f800000, v2
	v_rcp_f32_e32 v2, v2
	v_mul_f32_e32 v2, 0x5f7ffffc, v2
	v_mul_f32_e32 v3, 0x2f800000, v2
	v_trunc_f32_e32 v3, v3
	v_madmk_f32 v2, v3, 0xcf800000, v2
	v_cvt_u32_f32_e32 v3, v3
	v_cvt_u32_f32_e32 v2, v2
	v_mul_lo_u32 v4, s0, v3
	v_mul_hi_u32 v6, s0, v2
	v_mul_lo_u32 v5, s1, v2
	v_add_u32_e32 v4, v6, v4
	v_mul_lo_u32 v7, s0, v2
	v_add_u32_e32 v4, v4, v5
	v_mul_lo_u32 v6, v2, v4
	v_mul_hi_u32 v8, v2, v7
	v_mul_hi_u32 v5, v2, v4
	v_add_co_u32_e32 v6, vcc, v8, v6
	v_addc_co_u32_e32 v5, vcc, 0, v5, vcc
	v_mul_hi_u32 v9, v3, v7
	v_mul_lo_u32 v7, v3, v7
	v_add_co_u32_e32 v6, vcc, v6, v7
	v_mul_hi_u32 v8, v3, v4
	v_addc_co_u32_e32 v5, vcc, v5, v9, vcc
	v_addc_co_u32_e32 v6, vcc, 0, v8, vcc
	v_mul_lo_u32 v4, v3, v4
	v_add_co_u32_e32 v4, vcc, v5, v4
	v_addc_co_u32_e32 v5, vcc, 0, v6, vcc
	v_add_co_u32_e32 v2, vcc, v2, v4
	v_addc_co_u32_e32 v3, vcc, v3, v5, vcc
	v_mul_lo_u32 v4, s0, v3
	v_mul_hi_u32 v5, s0, v2
	v_add_u32_e32 v4, v5, v4
	v_mul_lo_u32 v5, s1, v2
	v_add_u32_e32 v4, v4, v5
	v_mul_lo_u32 v6, s0, v2
	v_mul_hi_u32 v7, v3, v6
	v_mul_lo_u32 v8, v3, v6
	v_mul_lo_u32 v10, v2, v4
	v_mul_hi_u32 v6, v2, v6
	v_mul_hi_u32 v9, v2, v4
	v_add_co_u32_e32 v6, vcc, v6, v10
	v_addc_co_u32_e32 v9, vcc, 0, v9, vcc
	v_add_co_u32_e32 v6, vcc, v6, v8
	v_mul_hi_u32 v5, v3, v4
	v_addc_co_u32_e32 v6, vcc, v9, v7, vcc
	v_addc_co_u32_e32 v5, vcc, 0, v5, vcc
	v_mul_lo_u32 v4, v3, v4
	v_add_co_u32_e32 v4, vcc, v6, v4
	v_addc_co_u32_e32 v5, vcc, 0, v5, vcc
	v_add_co_u32_e32 v4, vcc, v2, v4
	v_addc_co_u32_e32 v5, vcc, v3, v5, vcc
	v_ashrrev_i32_e32 v6, 31, v1
	v_add_co_u32_e32 v2, vcc, v0, v6
	v_addc_co_u32_e32 v3, vcc, v1, v6, vcc
	v_xor_b32_e32 v8, v2, v6
	v_xor_b32_e32 v7, v3, v6
	v_mad_u64_u32 v[2:3], s[0:1], v8, v5, 0
	v_mul_hi_u32 v9, v8, v4
	v_add_co_u32_e32 v9, vcc, v9, v2
	v_addc_co_u32_e32 v10, vcc, 0, v3, vcc
	v_mad_u64_u32 v[2:3], s[0:1], v7, v5, 0
	v_mad_u64_u32 v[4:5], s[0:1], v7, v4, 0
	v_add_co_u32_e32 v4, vcc, v9, v4
	v_addc_co_u32_e32 v4, vcc, v10, v5, vcc
	v_addc_co_u32_e32 v3, vcc, 0, v3, vcc
	v_add_co_u32_e32 v4, vcc, v4, v2
	v_addc_co_u32_e32 v5, vcc, 0, v3, vcc
	v_mul_lo_u32 v9, s17, v4
	v_mul_lo_u32 v10, s16, v5
	v_mad_u64_u32 v[2:3], s[0:1], s16, v4, 0
	v_add3_u32 v3, v3, v10, v9
	v_sub_u32_e32 v9, v7, v3
	v_mov_b32_e32 v10, s17
	v_sub_co_u32_e32 v2, vcc, v8, v2
	v_subb_co_u32_e64 v8, s[0:1], v9, v10, vcc
	v_subrev_co_u32_e64 v9, s[0:1], s16, v2
	v_subbrev_co_u32_e64 v8, s[0:1], 0, v8, s[0:1]
	v_cmp_le_u32_e64 s[0:1], s17, v8
	v_cndmask_b32_e64 v10, 0, -1, s[0:1]
	v_cmp_le_u32_e64 s[0:1], s16, v9
	v_cndmask_b32_e64 v9, 0, -1, s[0:1]
	v_cmp_eq_u32_e64 s[0:1], s17, v8
	v_cndmask_b32_e64 v8, v10, v9, s[0:1]
	v_add_co_u32_e64 v9, s[0:1], 2, v4
	v_subb_co_u32_e32 v3, vcc, v7, v3, vcc
	v_addc_co_u32_e64 v10, s[0:1], 0, v5, s[0:1]
	v_cmp_le_u32_e32 vcc, s17, v3
	v_add_co_u32_e64 v11, s[0:1], 1, v4
	v_cndmask_b32_e64 v7, 0, -1, vcc
	v_cmp_le_u32_e32 vcc, s16, v2
	v_addc_co_u32_e64 v12, s[0:1], 0, v5, s[0:1]
	v_cndmask_b32_e64 v2, 0, -1, vcc
	v_cmp_eq_u32_e32 vcc, s17, v3
	v_cmp_ne_u32_e64 s[0:1], 0, v8
	v_cndmask_b32_e32 v2, v7, v2, vcc
	v_cndmask_b32_e64 v8, v12, v10, s[0:1]
	v_cmp_ne_u32_e32 vcc, 0, v2
	v_cndmask_b32_e64 v3, v11, v9, s[0:1]
	v_cndmask_b32_e32 v2, v5, v8, vcc
	v_cndmask_b32_e32 v3, v4, v3, vcc
	v_xor_b32_e32 v5, s12, v6
	v_xor_b32_e32 v3, v3, v5
	;; [unrolled: 1-line block ×3, first 2 shown]
	v_sub_co_u32_e32 v4, vcc, v3, v5
	v_subb_co_u32_e32 v5, vcc, v2, v5, vcc
.LBB70_3:
	s_andn2_saveexec_b64 s[0:1], s[2:3]
	s_cbranch_execz .LBB70_5
; %bb.4:
	v_cvt_f32_u32_e32 v2, s10
	s_sub_i32 s2, 0, s10
	v_rcp_iflag_f32_e32 v2, v2
	v_mul_f32_e32 v2, 0x4f7ffffe, v2
	v_cvt_u32_f32_e32 v2, v2
	v_mul_lo_u32 v3, s2, v2
	v_mul_hi_u32 v3, v2, v3
	v_add_u32_e32 v2, v2, v3
	v_mul_hi_u32 v2, v0, v2
	v_mul_lo_u32 v3, v2, s10
	v_sub_u32_e32 v3, v0, v3
	v_add_u32_e32 v4, 1, v2
	v_subrev_u32_e32 v5, s10, v3
	v_cmp_le_u32_e32 vcc, s10, v3
	v_cndmask_b32_e32 v3, v3, v5, vcc
	v_cndmask_b32_e32 v2, v2, v4, vcc
	v_add_u32_e32 v4, 1, v2
	v_cmp_le_u32_e32 vcc, s10, v3
	v_cndmask_b32_e32 v4, v2, v4, vcc
	v_mov_b32_e32 v5, 0
.LBB70_5:
	s_or_b64 exec, exec, s[0:1]
	v_or_b32_e32 v3, s15, v5
	v_mov_b32_e32 v2, 0
	v_cmp_ne_u64_e32 vcc, 0, v[2:3]
                                        ; implicit-def: $vgpr2_vgpr3
	s_and_saveexec_b64 s[0:1], vcc
	s_xor_b64 s[12:13], exec, s[0:1]
	s_cbranch_execz .LBB70_7
; %bb.6:
	s_ashr_i32 s0, s15, 31
	s_add_u32 s2, s14, s0
	s_mov_b32 s1, s0
	s_addc_u32 s3, s15, s0
	s_xor_b64 s[16:17], s[2:3], s[0:1]
	v_cvt_f32_u32_e32 v2, s16
	v_cvt_f32_u32_e32 v3, s17
	s_sub_u32 s0, 0, s16
	s_subb_u32 s1, 0, s17
	v_madmk_f32 v2, v3, 0x4f800000, v2
	v_rcp_f32_e32 v2, v2
	v_mul_f32_e32 v2, 0x5f7ffffc, v2
	v_mul_f32_e32 v3, 0x2f800000, v2
	v_trunc_f32_e32 v3, v3
	v_madmk_f32 v2, v3, 0xcf800000, v2
	v_cvt_u32_f32_e32 v3, v3
	v_cvt_u32_f32_e32 v2, v2
	v_mul_lo_u32 v6, s0, v3
	v_mul_hi_u32 v8, s0, v2
	v_mul_lo_u32 v7, s1, v2
	v_add_u32_e32 v6, v8, v6
	v_mul_lo_u32 v9, s0, v2
	v_add_u32_e32 v6, v6, v7
	v_mul_lo_u32 v8, v2, v6
	v_mul_hi_u32 v10, v2, v9
	v_mul_hi_u32 v7, v2, v6
	v_add_co_u32_e32 v8, vcc, v10, v8
	v_addc_co_u32_e32 v7, vcc, 0, v7, vcc
	v_mul_hi_u32 v11, v3, v9
	v_mul_lo_u32 v9, v3, v9
	v_add_co_u32_e32 v8, vcc, v8, v9
	v_mul_hi_u32 v10, v3, v6
	v_addc_co_u32_e32 v7, vcc, v7, v11, vcc
	v_addc_co_u32_e32 v8, vcc, 0, v10, vcc
	v_mul_lo_u32 v6, v3, v6
	v_add_co_u32_e32 v6, vcc, v7, v6
	v_addc_co_u32_e32 v7, vcc, 0, v8, vcc
	v_add_co_u32_e32 v2, vcc, v2, v6
	v_addc_co_u32_e32 v3, vcc, v3, v7, vcc
	v_mul_lo_u32 v6, s0, v3
	v_mul_hi_u32 v7, s0, v2
	v_add_u32_e32 v6, v7, v6
	v_mul_lo_u32 v7, s1, v2
	v_add_u32_e32 v6, v6, v7
	v_mul_lo_u32 v8, s0, v2
	v_mul_hi_u32 v9, v3, v8
	v_mul_lo_u32 v10, v3, v8
	v_mul_lo_u32 v12, v2, v6
	v_mul_hi_u32 v8, v2, v8
	v_mul_hi_u32 v11, v2, v6
	v_add_co_u32_e32 v8, vcc, v8, v12
	v_addc_co_u32_e32 v11, vcc, 0, v11, vcc
	v_add_co_u32_e32 v8, vcc, v8, v10
	v_mul_hi_u32 v7, v3, v6
	v_addc_co_u32_e32 v8, vcc, v11, v9, vcc
	v_addc_co_u32_e32 v7, vcc, 0, v7, vcc
	v_mul_lo_u32 v6, v3, v6
	v_add_co_u32_e32 v6, vcc, v8, v6
	v_addc_co_u32_e32 v7, vcc, 0, v7, vcc
	v_add_co_u32_e32 v6, vcc, v2, v6
	v_addc_co_u32_e32 v7, vcc, v3, v7, vcc
	v_ashrrev_i32_e32 v8, 31, v5
	v_add_co_u32_e32 v2, vcc, v4, v8
	v_addc_co_u32_e32 v3, vcc, v5, v8, vcc
	v_xor_b32_e32 v10, v2, v8
	v_xor_b32_e32 v9, v3, v8
	v_mad_u64_u32 v[2:3], s[0:1], v10, v7, 0
	v_mul_hi_u32 v11, v10, v6
	v_add_co_u32_e32 v11, vcc, v11, v2
	v_addc_co_u32_e32 v12, vcc, 0, v3, vcc
	v_mad_u64_u32 v[2:3], s[0:1], v9, v7, 0
	v_mad_u64_u32 v[6:7], s[0:1], v9, v6, 0
	v_add_co_u32_e32 v6, vcc, v11, v6
	v_addc_co_u32_e32 v6, vcc, v12, v7, vcc
	v_addc_co_u32_e32 v3, vcc, 0, v3, vcc
	v_add_co_u32_e32 v2, vcc, v6, v2
	v_addc_co_u32_e32 v3, vcc, 0, v3, vcc
	v_mul_lo_u32 v6, s17, v2
	v_mul_lo_u32 v7, s16, v3
	v_mad_u64_u32 v[2:3], s[0:1], s16, v2, 0
	v_add3_u32 v3, v3, v7, v6
	v_sub_u32_e32 v6, v9, v3
	v_mov_b32_e32 v7, s17
	v_sub_co_u32_e32 v2, vcc, v10, v2
	v_subb_co_u32_e64 v6, s[0:1], v6, v7, vcc
	v_subrev_co_u32_e64 v10, s[0:1], s16, v2
	v_subbrev_co_u32_e64 v11, s[2:3], 0, v6, s[0:1]
	v_cmp_le_u32_e64 s[2:3], s17, v11
	v_cndmask_b32_e64 v12, 0, -1, s[2:3]
	v_cmp_le_u32_e64 s[2:3], s16, v10
	v_subb_co_u32_e64 v6, s[0:1], v6, v7, s[0:1]
	v_cndmask_b32_e64 v13, 0, -1, s[2:3]
	v_cmp_eq_u32_e64 s[2:3], s17, v11
	v_subrev_co_u32_e64 v7, s[0:1], s16, v10
	v_subb_co_u32_e32 v3, vcc, v9, v3, vcc
	v_cndmask_b32_e64 v12, v12, v13, s[2:3]
	v_subbrev_co_u32_e64 v6, s[0:1], 0, v6, s[0:1]
	v_cmp_le_u32_e32 vcc, s17, v3
	v_cmp_ne_u32_e64 s[0:1], 0, v12
	v_cndmask_b32_e64 v9, 0, -1, vcc
	v_cmp_le_u32_e32 vcc, s16, v2
	v_cndmask_b32_e64 v6, v11, v6, s[0:1]
	v_cndmask_b32_e64 v11, 0, -1, vcc
	v_cmp_eq_u32_e32 vcc, s17, v3
	v_cndmask_b32_e32 v9, v9, v11, vcc
	v_cmp_ne_u32_e32 vcc, 0, v9
	v_cndmask_b32_e32 v3, v3, v6, vcc
	v_cndmask_b32_e64 v6, v10, v7, s[0:1]
	v_cndmask_b32_e32 v2, v2, v6, vcc
	v_xor_b32_e32 v2, v2, v8
	v_xor_b32_e32 v3, v3, v8
	v_sub_co_u32_e32 v2, vcc, v2, v8
	v_subb_co_u32_e32 v3, vcc, v3, v8, vcc
.LBB70_7:
	s_or_saveexec_b64 s[0:1], s[12:13]
	s_load_dwordx2 s[2:3], s[4:5], 0xa8
	s_load_dwordx8 s[36:43], s[4:5], 0x88
	s_xor_b64 exec, exec, s[0:1]
	s_cbranch_execz .LBB70_9
; %bb.8:
	v_cvt_f32_u32_e32 v2, s14
	s_sub_i32 s12, 0, s14
	v_rcp_iflag_f32_e32 v2, v2
	v_mul_f32_e32 v2, 0x4f7ffffe, v2
	v_cvt_u32_f32_e32 v2, v2
	v_mul_lo_u32 v3, s12, v2
	v_mul_hi_u32 v3, v2, v3
	v_add_u32_e32 v2, v2, v3
	v_mul_hi_u32 v2, v4, v2
	v_mul_lo_u32 v2, v2, s14
	v_sub_u32_e32 v2, v4, v2
	v_subrev_u32_e32 v3, s14, v2
	v_cmp_le_u32_e32 vcc, s14, v2
	v_cndmask_b32_e32 v2, v2, v3, vcc
	v_subrev_u32_e32 v3, s14, v2
	v_cmp_le_u32_e32 vcc, s14, v2
	v_cndmask_b32_e32 v2, v2, v3, vcc
	v_mov_b32_e32 v3, 0
.LBB70_9:
	s_or_b64 exec, exec, s[0:1]
	s_load_dwordx2 s[30:31], s[4:5], 0x58
	s_load_dwordx2 s[28:29], s[4:5], 0x0
	v_or_b32_e32 v7, s9, v1
	v_mov_b32_e32 v6, 0
	v_cmp_ne_u64_e32 vcc, 0, v[6:7]
                                        ; implicit-def: $vgpr6_vgpr7
	s_and_saveexec_b64 s[0:1], vcc
	s_xor_b64 s[12:13], exec, s[0:1]
	s_cbranch_execz .LBB70_11
; %bb.10:
	s_ashr_i32 s14, s9, 31
	s_add_u32 s0, s6, s14
	s_mov_b32 s15, s14
	s_addc_u32 s1, s9, s14
	s_xor_b64 s[16:17], s[0:1], s[14:15]
	v_cvt_f32_u32_e32 v6, s16
	v_cvt_f32_u32_e32 v7, s17
	s_sub_u32 s0, 0, s16
	s_subb_u32 s1, 0, s17
	v_madmk_f32 v6, v7, 0x4f800000, v6
	v_rcp_f32_e32 v6, v6
	v_mul_f32_e32 v6, 0x5f7ffffc, v6
	v_mul_f32_e32 v7, 0x2f800000, v6
	v_trunc_f32_e32 v7, v7
	v_madmk_f32 v6, v7, 0xcf800000, v6
	v_cvt_u32_f32_e32 v7, v7
	v_cvt_u32_f32_e32 v6, v6
	v_mul_lo_u32 v8, s0, v7
	v_mul_hi_u32 v10, s0, v6
	v_mul_lo_u32 v9, s1, v6
	v_add_u32_e32 v8, v10, v8
	v_mul_lo_u32 v11, s0, v6
	v_add_u32_e32 v8, v8, v9
	v_mul_lo_u32 v10, v6, v8
	v_mul_hi_u32 v12, v6, v11
	v_mul_hi_u32 v9, v6, v8
	v_add_co_u32_e32 v10, vcc, v12, v10
	v_addc_co_u32_e32 v9, vcc, 0, v9, vcc
	v_mul_hi_u32 v13, v7, v11
	v_mul_lo_u32 v11, v7, v11
	v_add_co_u32_e32 v10, vcc, v10, v11
	v_mul_hi_u32 v12, v7, v8
	v_addc_co_u32_e32 v9, vcc, v9, v13, vcc
	v_addc_co_u32_e32 v10, vcc, 0, v12, vcc
	v_mul_lo_u32 v8, v7, v8
	v_add_co_u32_e32 v8, vcc, v9, v8
	v_addc_co_u32_e32 v9, vcc, 0, v10, vcc
	v_add_co_u32_e32 v6, vcc, v6, v8
	v_addc_co_u32_e32 v7, vcc, v7, v9, vcc
	v_mul_lo_u32 v8, s0, v7
	v_mul_hi_u32 v9, s0, v6
	v_add_u32_e32 v8, v9, v8
	v_mul_lo_u32 v9, s1, v6
	v_add_u32_e32 v8, v8, v9
	v_mul_lo_u32 v10, s0, v6
	v_mul_hi_u32 v11, v7, v10
	v_mul_lo_u32 v12, v7, v10
	v_mul_lo_u32 v14, v6, v8
	v_mul_hi_u32 v10, v6, v10
	v_mul_hi_u32 v13, v6, v8
	v_add_co_u32_e32 v10, vcc, v10, v14
	v_addc_co_u32_e32 v13, vcc, 0, v13, vcc
	v_add_co_u32_e32 v10, vcc, v10, v12
	v_mul_hi_u32 v9, v7, v8
	v_addc_co_u32_e32 v10, vcc, v13, v11, vcc
	v_addc_co_u32_e32 v9, vcc, 0, v9, vcc
	v_mul_lo_u32 v8, v7, v8
	v_add_co_u32_e32 v8, vcc, v10, v8
	v_addc_co_u32_e32 v9, vcc, 0, v9, vcc
	v_add_co_u32_e32 v8, vcc, v6, v8
	v_addc_co_u32_e32 v9, vcc, v7, v9, vcc
	v_ashrrev_i32_e32 v10, 31, v1
	v_add_co_u32_e32 v6, vcc, v0, v10
	v_addc_co_u32_e32 v7, vcc, v1, v10, vcc
	v_xor_b32_e32 v12, v6, v10
	v_xor_b32_e32 v11, v7, v10
	v_mad_u64_u32 v[6:7], s[0:1], v12, v9, 0
	v_mul_hi_u32 v13, v12, v8
	v_add_co_u32_e32 v13, vcc, v13, v6
	v_addc_co_u32_e32 v14, vcc, 0, v7, vcc
	v_mad_u64_u32 v[6:7], s[0:1], v11, v9, 0
	v_mad_u64_u32 v[8:9], s[0:1], v11, v8, 0
	v_add_co_u32_e32 v8, vcc, v13, v8
	v_addc_co_u32_e32 v8, vcc, v14, v9, vcc
	v_addc_co_u32_e32 v7, vcc, 0, v7, vcc
	v_add_co_u32_e32 v8, vcc, v8, v6
	v_addc_co_u32_e32 v9, vcc, 0, v7, vcc
	v_mul_lo_u32 v13, s17, v8
	v_mul_lo_u32 v14, s16, v9
	v_mad_u64_u32 v[6:7], s[0:1], s16, v8, 0
	v_add3_u32 v7, v7, v14, v13
	v_sub_u32_e32 v13, v11, v7
	v_mov_b32_e32 v14, s17
	v_sub_co_u32_e32 v6, vcc, v12, v6
	v_subb_co_u32_e64 v12, s[0:1], v13, v14, vcc
	v_subrev_co_u32_e64 v13, s[0:1], s16, v6
	v_subbrev_co_u32_e64 v12, s[0:1], 0, v12, s[0:1]
	v_cmp_le_u32_e64 s[0:1], s17, v12
	v_cndmask_b32_e64 v14, 0, -1, s[0:1]
	v_cmp_le_u32_e64 s[0:1], s16, v13
	v_cndmask_b32_e64 v13, 0, -1, s[0:1]
	v_cmp_eq_u32_e64 s[0:1], s17, v12
	v_cndmask_b32_e64 v12, v14, v13, s[0:1]
	v_add_co_u32_e64 v13, s[0:1], 2, v8
	v_subb_co_u32_e32 v7, vcc, v11, v7, vcc
	v_addc_co_u32_e64 v14, s[0:1], 0, v9, s[0:1]
	v_cmp_le_u32_e32 vcc, s17, v7
	v_add_co_u32_e64 v15, s[0:1], 1, v8
	v_cndmask_b32_e64 v11, 0, -1, vcc
	v_cmp_le_u32_e32 vcc, s16, v6
	v_addc_co_u32_e64 v16, s[0:1], 0, v9, s[0:1]
	v_cndmask_b32_e64 v6, 0, -1, vcc
	v_cmp_eq_u32_e32 vcc, s17, v7
	v_cmp_ne_u32_e64 s[0:1], 0, v12
	v_cndmask_b32_e32 v6, v11, v6, vcc
	v_cndmask_b32_e64 v12, v16, v14, s[0:1]
	v_cmp_ne_u32_e32 vcc, 0, v6
	v_cndmask_b32_e64 v7, v15, v13, s[0:1]
	v_cndmask_b32_e32 v6, v9, v12, vcc
	v_cndmask_b32_e32 v7, v8, v7, vcc
	v_xor_b32_e32 v8, s14, v10
	v_xor_b32_e32 v9, v6, v8
	;; [unrolled: 1-line block ×3, first 2 shown]
	v_sub_co_u32_e32 v6, vcc, v6, v8
	v_subb_co_u32_e32 v7, vcc, v9, v8, vcc
.LBB70_11:
	s_or_saveexec_b64 s[0:1], s[12:13]
	s_load_dwordx16 s[12:27], s[4:5], 0x18
	s_xor_b64 exec, exec, s[0:1]
	s_cbranch_execz .LBB70_13
; %bb.12:
	v_cvt_f32_u32_e32 v6, s6
	s_sub_i32 s9, 0, s6
	v_rcp_iflag_f32_e32 v6, v6
	v_mul_f32_e32 v6, 0x4f7ffffe, v6
	v_cvt_u32_f32_e32 v6, v6
	v_mul_lo_u32 v7, s9, v6
	v_mul_hi_u32 v7, v6, v7
	v_add_u32_e32 v6, v6, v7
	v_mul_hi_u32 v6, v0, v6
	v_mul_lo_u32 v7, v6, s6
	v_sub_u32_e32 v7, v0, v7
	v_add_u32_e32 v8, 1, v6
	v_subrev_u32_e32 v9, s6, v7
	v_cmp_le_u32_e32 vcc, s6, v7
	v_cndmask_b32_e32 v7, v7, v9, vcc
	v_cndmask_b32_e32 v6, v6, v8, vcc
	v_add_u32_e32 v8, 1, v6
	v_cmp_le_u32_e32 vcc, s6, v7
	v_cndmask_b32_e32 v6, v6, v8, vcc
	v_mov_b32_e32 v7, 0
.LBB70_13:
	s_or_b64 exec, exec, s[0:1]
	s_load_dwordx8 s[44:51], s[4:5], 0xb0
	v_mul_lo_u32 v8, v5, s10
	v_mul_lo_u32 v9, v4, s11
	v_mad_u64_u32 v[4:5], s[0:1], v4, s10, 0
	s_load_dwordx2 s[0:1], s[4:5], 0xd0
	s_waitcnt lgkmcnt(0)
	s_sub_u32 s4, 0, s44
	s_subb_u32 s5, 0, s45
	s_sub_u32 s10, 0, s46
	s_subb_u32 s11, 0, s47
	;; [unrolled: 2-line block ×3, first 2 shown]
	v_cmp_gt_i64_e64 s[52:53], s[4:5], 0
	s_and_b64 s[52:53], s[52:53], exec
	s_cselect_b32 s6, s5, 0
	s_cselect_b32 s9, s4, 0
	v_cmp_gt_i64_e64 s[4:5], s[44:45], 0
	s_and_b64 s[4:5], s[4:5], exec
	v_cmp_gt_i64_e64 s[4:5], s[10:11], 0
	s_cselect_b32 s53, s45, 0
	s_cselect_b32 s52, s44, 0
	s_and_b64 s[4:5], s[4:5], exec
	v_add3_u32 v5, v5, v9, v8
	v_sub_co_u32_e32 v4, vcc, v0, v4
	v_cmp_gt_i64_e64 s[4:5], s[46:47], 0
	v_subb_co_u32_e32 v5, vcc, v1, v5, vcc
	s_cselect_b32 s33, s11, 0
	s_cselect_b32 s54, s10, 0
	s_and_b64 s[4:5], s[4:5], exec
	v_cmp_gt_i64_e64 s[4:5], s[34:35], 0
	v_mov_b32_e32 v1, s45
	v_subrev_co_u32_e32 v0, vcc, s44, v4
	s_cselect_b32 s11, s47, 0
	s_cselect_b32 s10, s46, 0
	s_and_b64 s[4:5], s[4:5], exec
	v_subb_co_u32_e32 v1, vcc, v5, v1, vcc
	v_cmp_gt_i64_e64 s[4:5], s[48:49], 0
	v_ashrrev_i32_e32 v8, 31, v1
	s_cselect_b32 s55, s35, 0
	s_cselect_b32 s56, s34, 0
	s_and_b64 s[4:5], s[4:5], exec
	v_xor_b32_e32 v0, v0, v8
	s_cselect_b32 s5, s49, 0
	s_cselect_b32 s4, s48, 0
	v_xor_b32_e32 v1, v1, v8
	v_sub_co_u32_e32 v9, vcc, v0, v8
	s_add_u32 s34, s16, s44
	v_subb_co_u32_e32 v8, vcc, v1, v8, vcc
	s_addc_u32 s35, s17, s45
	v_mov_b32_e32 v1, s35
	v_subrev_co_u32_e32 v0, vcc, s34, v4
	v_subb_co_u32_e32 v1, vcc, v5, v1, vcc
	v_add_co_u32_e32 v0, vcc, 1, v0
	v_addc_co_u32_e32 v1, vcc, 0, v1, vcc
	s_lshl_b64 s[34:35], s[44:45], 1
	s_not_b64 s[44:45], s[52:53]
	v_ashrrev_i32_e32 v10, 31, v1
	s_add_u32 s34, s34, s44
	v_xor_b32_e32 v0, v0, v10
	s_addc_u32 s35, s35, s45
	v_xor_b32_e32 v1, v1, v10
	v_sub_co_u32_e32 v0, vcc, v0, v10
	s_add_u32 s9, s34, s9
	v_subb_co_u32_e32 v1, vcc, v1, v10, vcc
	s_addc_u32 s6, s35, s6
	s_add_u32 s9, s9, s16
	v_add_co_u32_e32 v0, vcc, v4, v0
	s_addc_u32 s6, s6, s17
	v_addc_co_u32_e32 v1, vcc, v5, v1, vcc
	v_mov_b32_e32 v10, s6
	v_sub_co_u32_e32 v0, vcc, s9, v0
	v_subb_co_u32_e32 v1, vcc, v10, v1, vcc
	v_add_co_u32_e32 v9, vcc, v0, v9
	v_addc_co_u32_e32 v8, vcc, v1, v8, vcc
	v_mov_b32_e32 v0, s47
	v_subrev_co_u32_e32 v1, vcc, s46, v2
	v_subb_co_u32_e32 v0, vcc, v3, v0, vcc
	v_ashrrev_i32_e32 v10, 31, v0
	v_xor_b32_e32 v1, v1, v10
	v_xor_b32_e32 v0, v0, v10
	v_sub_co_u32_e32 v1, vcc, v1, v10
	s_add_u32 s6, s14, s46
	v_subb_co_u32_e32 v0, vcc, v0, v10, vcc
	s_addc_u32 s9, s15, s47
	v_mov_b32_e32 v10, s9
	v_subrev_co_u32_e32 v11, vcc, s6, v2
	v_subb_co_u32_e32 v10, vcc, v3, v10, vcc
	v_add_co_u32_e32 v11, vcc, 1, v11
	v_addc_co_u32_e32 v10, vcc, 0, v10, vcc
	s_lshl_b64 s[16:17], s[46:47], 1
	s_not_b64 s[10:11], s[10:11]
	v_ashrrev_i32_e32 v12, 31, v10
	s_add_u32 s6, s16, s10
	v_xor_b32_e32 v11, v11, v12
	s_addc_u32 s9, s17, s11
	v_xor_b32_e32 v10, v10, v12
	v_sub_co_u32_e32 v11, vcc, v11, v12
	s_add_u32 s6, s6, s54
	v_subb_co_u32_e32 v10, vcc, v10, v12, vcc
	s_addc_u32 s9, s9, s33
	s_add_u32 s6, s6, s14
	v_add_co_u32_e32 v11, vcc, v2, v11
	s_addc_u32 s9, s9, s15
	v_addc_co_u32_e32 v10, vcc, v3, v10, vcc
	v_mov_b32_e32 v12, s9
	v_sub_co_u32_e32 v11, vcc, s6, v11
	v_subb_co_u32_e32 v10, vcc, v12, v10, vcc
	v_add_co_u32_e32 v11, vcc, v11, v1
	v_addc_co_u32_e32 v10, vcc, v10, v0, vcc
	v_mov_b32_e32 v0, s49
	v_subrev_co_u32_e32 v1, vcc, s48, v6
	v_subb_co_u32_e32 v0, vcc, v7, v0, vcc
	v_ashrrev_i32_e32 v12, 31, v0
	v_xor_b32_e32 v1, v1, v12
	v_xor_b32_e32 v0, v0, v12
	v_sub_co_u32_e32 v1, vcc, v1, v12
	s_add_u32 s6, s12, s48
	v_subb_co_u32_e32 v0, vcc, v0, v12, vcc
	s_addc_u32 s9, s13, s49
	v_mov_b32_e32 v12, s9
	v_subrev_co_u32_e32 v13, vcc, s6, v6
	v_subb_co_u32_e32 v12, vcc, v7, v12, vcc
	v_add_co_u32_e32 v13, vcc, 1, v13
	v_addc_co_u32_e32 v12, vcc, 0, v12, vcc
	s_lshl_b64 s[10:11], s[48:49], 1
	s_not_b64 s[4:5], s[4:5]
	v_ashrrev_i32_e32 v14, 31, v12
	s_add_u32 s4, s10, s4
	v_xor_b32_e32 v13, v13, v14
	s_addc_u32 s5, s11, s5
	v_xor_b32_e32 v12, v12, v14
	v_sub_co_u32_e32 v13, vcc, v13, v14
	s_add_u32 s4, s4, s56
	v_subb_co_u32_e32 v12, vcc, v12, v14, vcc
	s_addc_u32 s5, s5, s55
	s_add_u32 s4, s4, s12
	v_add_co_u32_e32 v13, vcc, v6, v13
	s_addc_u32 s5, s5, s13
	v_addc_co_u32_e32 v12, vcc, v7, v12, vcc
	v_sub_co_u32_e32 v13, vcc, s4, v13
	s_add_u32 s4, s7, s50
	v_mov_b32_e32 v14, s5
	s_addc_u32 s5, 0, s51
	s_add_u32 s6, s8, s0
	s_addc_u32 s7, 0, s1
	s_mul_i32 s0, s36, s7
	s_mul_hi_u32 s1, s36, s6
	s_add_i32 s0, s1, s0
	s_mul_i32 s1, s37, s6
	s_add_i32 s1, s0, s1
	s_mul_i32 s0, s36, s6
	s_lshl_b64 s[0:1], s[0:1], 4
	s_add_u32 s8, s30, s0
	s_addc_u32 s9, s31, s1
	s_mul_i32 s0, s38, s5
	s_mul_hi_u32 s1, s38, s4
	s_add_i32 s0, s1, s0
	s_mul_i32 s1, s39, s4
	s_add_i32 s1, s0, s1
	s_mul_i32 s0, s38, s4
	v_subb_co_u32_e32 v12, vcc, v14, v12, vcc
	s_lshl_b64 s[0:1], s[0:1], 4
	v_add_co_u32_e32 v13, vcc, v13, v1
	s_add_u32 s8, s8, s0
	v_addc_co_u32_e32 v12, vcc, v12, v0, vcc
	s_addc_u32 s9, s9, s1
	v_mul_lo_u32 v7, v7, s40
	v_mul_lo_u32 v14, v6, s41
	v_mad_u64_u32 v[0:1], s[0:1], v6, s40, 0
	v_add3_u32 v1, v1, v14, v7
	v_lshlrev_b64 v[0:1], 4, v[0:1]
	v_mov_b32_e32 v6, s9
	v_add_co_u32_e32 v7, vcc, s8, v0
	v_addc_co_u32_e32 v6, vcc, v6, v1, vcc
	v_mul_lo_u32 v3, v3, s42
	v_mul_lo_u32 v14, v2, s43
	v_mad_u64_u32 v[0:1], s[0:1], v2, s42, 0
	v_add3_u32 v1, v1, v14, v3
	v_lshlrev_b64 v[0:1], 4, v[0:1]
	v_add_co_u32_e32 v2, vcc, v7, v0
	v_addc_co_u32_e32 v3, vcc, v6, v1, vcc
	v_mad_u64_u32 v[0:1], s[0:1], v4, s2, 0
	s_mul_i32 s0, s18, s7
	s_mul_hi_u32 s1, s18, s6
	s_add_i32 s0, s1, s0
	s_mul_i32 s1, s19, s6
	s_add_i32 s1, s0, s1
	s_mul_i32 s0, s18, s6
	s_lshl_b64 s[0:1], s[0:1], 4
	v_mul_lo_u32 v5, v5, s2
	s_add_u32 s2, s28, s0
	v_mul_lo_u32 v6, v4, s3
	s_addc_u32 s3, s29, s1
	s_mul_i32 s0, s20, s5
	s_mul_hi_u32 s1, s20, s4
	s_add_i32 s0, s1, s0
	s_mul_i32 s1, s21, s4
	s_add_i32 s1, s0, s1
	s_mul_i32 s0, s20, s4
	s_lshl_b64 s[0:1], s[0:1], 4
	v_add3_u32 v1, v1, v6, v5
	s_add_u32 s2, s2, s0
	v_lshlrev_b64 v[0:1], 4, v[0:1]
	s_addc_u32 s3, s3, s1
	v_mul_lo_u32 v6, v12, s22
	v_mul_lo_u32 v7, v13, s23
	v_mad_u64_u32 v[4:5], s[0:1], v13, s22, 0
	v_add_co_u32_e32 v0, vcc, v2, v0
	v_add3_u32 v5, v5, v7, v6
	v_addc_co_u32_e32 v1, vcc, v3, v1, vcc
	v_lshlrev_b64 v[4:5], 4, v[4:5]
	v_mov_b32_e32 v6, s3
	v_add_co_u32_e32 v7, vcc, s2, v4
	v_addc_co_u32_e32 v6, vcc, v6, v5, vcc
	v_mul_lo_u32 v10, v10, s24
	v_mul_lo_u32 v12, v11, s25
	v_mad_u64_u32 v[4:5], s[0:1], v11, s24, 0
	v_add3_u32 v5, v5, v12, v10
	v_lshlrev_b64 v[4:5], 4, v[4:5]
	v_add_co_u32_e32 v7, vcc, v7, v4
	v_addc_co_u32_e32 v6, vcc, v6, v5, vcc
	v_mul_lo_u32 v8, v8, s26
	v_mul_lo_u32 v10, v9, s27
	v_mad_u64_u32 v[4:5], s[0:1], v9, s26, 0
	v_add3_u32 v5, v5, v10, v8
	v_lshlrev_b64 v[4:5], 4, v[4:5]
	v_add_co_u32_e32 v8, vcc, v7, v4
	v_addc_co_u32_e32 v9, vcc, v6, v5, vcc
	global_load_dwordx4 v[0:3], v[0:1], off
	s_mov_b64 s[0:1], 0
	global_load_dwordx2 v[6:7], v[8:9], off
.LBB70_14:                              ; =>This Inner Loop Header: Depth=1
	s_waitcnt vmcnt(0)
	v_add_f64 v[4:5], v[6:7], v[0:1]
	global_atomic_cmpswap_x2 v[4:5], v[8:9], v[4:7], off glc
	s_waitcnt vmcnt(0)
	v_cmp_eq_u64_e32 vcc, v[4:5], v[6:7]
	s_or_b64 s[0:1], vcc, s[0:1]
	v_pk_mov_b32 v[6:7], v[4:5], v[4:5] op_sel:[0,1]
	s_andn2_b64 exec, exec, s[0:1]
	s_cbranch_execnz .LBB70_14
; %bb.15:
	s_or_b64 exec, exec, s[0:1]
	global_load_dwordx2 v[6:7], v[8:9], off offset:8
	s_mov_b64 s[0:1], 0
.LBB70_16:                              ; =>This Inner Loop Header: Depth=1
	s_waitcnt vmcnt(0)
	v_add_f64 v[4:5], v[6:7], v[2:3]
	global_atomic_cmpswap_x2 v[0:1], v[8:9], v[4:7], off offset:8 glc
	s_waitcnt vmcnt(0)
	v_cmp_eq_u64_e32 vcc, v[0:1], v[6:7]
	s_or_b64 s[0:1], vcc, s[0:1]
	v_pk_mov_b32 v[6:7], v[0:1], v[0:1] op_sel:[0,1]
	s_andn2_b64 exec, exec, s[0:1]
	s_cbranch_execnz .LBB70_16
.LBB70_17:
	s_endpgm
	.section	.rodata,"a",@progbits
	.p2align	6, 0x0
	.amdhsa_kernel _ZN2at6native12_GLOBAL__N_136reflection_pad3d_backward_out_kernelIN3c107complexIdEEEEvN5torch10headeronly6detail27GenericPackedTensorAccessorINS8_14TensorAccessorINS3_8ArrayRefIlEET_Lm4ENS7_16DefaultPtrTraitsElEENS_6detail16IndexBoundsCheckILm5ElEESD_Lm5ESE_lEENS9_INSA_ISC_KSD_Lm4ESE_lEESI_SK_Lm5ESE_lEElllll
		.amdhsa_group_segment_fixed_size 0
		.amdhsa_private_segment_fixed_size 0
		.amdhsa_kernarg_size 472
		.amdhsa_user_sgpr_count 6
		.amdhsa_user_sgpr_private_segment_buffer 1
		.amdhsa_user_sgpr_dispatch_ptr 0
		.amdhsa_user_sgpr_queue_ptr 0
		.amdhsa_user_sgpr_kernarg_segment_ptr 1
		.amdhsa_user_sgpr_dispatch_id 0
		.amdhsa_user_sgpr_flat_scratch_init 0
		.amdhsa_user_sgpr_kernarg_preload_length 0
		.amdhsa_user_sgpr_kernarg_preload_offset 0
		.amdhsa_user_sgpr_private_segment_size 0
		.amdhsa_uses_dynamic_stack 0
		.amdhsa_system_sgpr_private_segment_wavefront_offset 0
		.amdhsa_system_sgpr_workgroup_id_x 1
		.amdhsa_system_sgpr_workgroup_id_y 1
		.amdhsa_system_sgpr_workgroup_id_z 1
		.amdhsa_system_sgpr_workgroup_info 0
		.amdhsa_system_vgpr_workitem_id 0
		.amdhsa_next_free_vgpr 17
		.amdhsa_next_free_sgpr 57
		.amdhsa_accum_offset 20
		.amdhsa_reserve_vcc 1
		.amdhsa_reserve_flat_scratch 0
		.amdhsa_float_round_mode_32 0
		.amdhsa_float_round_mode_16_64 0
		.amdhsa_float_denorm_mode_32 3
		.amdhsa_float_denorm_mode_16_64 3
		.amdhsa_dx10_clamp 1
		.amdhsa_ieee_mode 1
		.amdhsa_fp16_overflow 0
		.amdhsa_tg_split 0
		.amdhsa_exception_fp_ieee_invalid_op 0
		.amdhsa_exception_fp_denorm_src 0
		.amdhsa_exception_fp_ieee_div_zero 0
		.amdhsa_exception_fp_ieee_overflow 0
		.amdhsa_exception_fp_ieee_underflow 0
		.amdhsa_exception_fp_ieee_inexact 0
		.amdhsa_exception_int_div_zero 0
	.end_amdhsa_kernel
	.section	.text._ZN2at6native12_GLOBAL__N_136reflection_pad3d_backward_out_kernelIN3c107complexIdEEEEvN5torch10headeronly6detail27GenericPackedTensorAccessorINS8_14TensorAccessorINS3_8ArrayRefIlEET_Lm4ENS7_16DefaultPtrTraitsElEENS_6detail16IndexBoundsCheckILm5ElEESD_Lm5ESE_lEENS9_INSA_ISC_KSD_Lm4ESE_lEESI_SK_Lm5ESE_lEElllll,"axG",@progbits,_ZN2at6native12_GLOBAL__N_136reflection_pad3d_backward_out_kernelIN3c107complexIdEEEEvN5torch10headeronly6detail27GenericPackedTensorAccessorINS8_14TensorAccessorINS3_8ArrayRefIlEET_Lm4ENS7_16DefaultPtrTraitsElEENS_6detail16IndexBoundsCheckILm5ElEESD_Lm5ESE_lEENS9_INSA_ISC_KSD_Lm4ESE_lEESI_SK_Lm5ESE_lEElllll,comdat
.Lfunc_end70:
	.size	_ZN2at6native12_GLOBAL__N_136reflection_pad3d_backward_out_kernelIN3c107complexIdEEEEvN5torch10headeronly6detail27GenericPackedTensorAccessorINS8_14TensorAccessorINS3_8ArrayRefIlEET_Lm4ENS7_16DefaultPtrTraitsElEENS_6detail16IndexBoundsCheckILm5ElEESD_Lm5ESE_lEENS9_INSA_ISC_KSD_Lm4ESE_lEESI_SK_Lm5ESE_lEElllll, .Lfunc_end70-_ZN2at6native12_GLOBAL__N_136reflection_pad3d_backward_out_kernelIN3c107complexIdEEEEvN5torch10headeronly6detail27GenericPackedTensorAccessorINS8_14TensorAccessorINS3_8ArrayRefIlEET_Lm4ENS7_16DefaultPtrTraitsElEENS_6detail16IndexBoundsCheckILm5ElEESD_Lm5ESE_lEENS9_INSA_ISC_KSD_Lm4ESE_lEESI_SK_Lm5ESE_lEElllll
                                        ; -- End function
	.section	.AMDGPU.csdata,"",@progbits
; Kernel info:
; codeLenInByte = 3792
; NumSgprs: 61
; NumVgprs: 17
; NumAgprs: 0
; TotalNumVgprs: 17
; ScratchSize: 0
; MemoryBound: 0
; FloatMode: 240
; IeeeMode: 1
; LDSByteSize: 0 bytes/workgroup (compile time only)
; SGPRBlocks: 7
; VGPRBlocks: 2
; NumSGPRsForWavesPerEU: 61
; NumVGPRsForWavesPerEU: 17
; AccumOffset: 20
; Occupancy: 8
; WaveLimiterHint : 0
; COMPUTE_PGM_RSRC2:SCRATCH_EN: 0
; COMPUTE_PGM_RSRC2:USER_SGPR: 6
; COMPUTE_PGM_RSRC2:TRAP_HANDLER: 0
; COMPUTE_PGM_RSRC2:TGID_X_EN: 1
; COMPUTE_PGM_RSRC2:TGID_Y_EN: 1
; COMPUTE_PGM_RSRC2:TGID_Z_EN: 1
; COMPUTE_PGM_RSRC2:TIDIG_COMP_CNT: 0
; COMPUTE_PGM_RSRC3_GFX90A:ACCUM_OFFSET: 4
; COMPUTE_PGM_RSRC3_GFX90A:TG_SPLIT: 0
	.section	.text._ZN2at6native12_GLOBAL__N_136reflection_pad3d_backward_out_kernelIN3c107complexIfEEEEvN5torch10headeronly6detail27GenericPackedTensorAccessorINS8_14TensorAccessorINS3_8ArrayRefIlEET_Lm4ENS7_16DefaultPtrTraitsElEENS_6detail16IndexBoundsCheckILm5ElEESD_Lm5ESE_lEENS9_INSA_ISC_KSD_Lm4ESE_lEESI_SK_Lm5ESE_lEElllll,"axG",@progbits,_ZN2at6native12_GLOBAL__N_136reflection_pad3d_backward_out_kernelIN3c107complexIfEEEEvN5torch10headeronly6detail27GenericPackedTensorAccessorINS8_14TensorAccessorINS3_8ArrayRefIlEET_Lm4ENS7_16DefaultPtrTraitsElEENS_6detail16IndexBoundsCheckILm5ElEESD_Lm5ESE_lEENS9_INSA_ISC_KSD_Lm4ESE_lEESI_SK_Lm5ESE_lEElllll,comdat
	.globl	_ZN2at6native12_GLOBAL__N_136reflection_pad3d_backward_out_kernelIN3c107complexIfEEEEvN5torch10headeronly6detail27GenericPackedTensorAccessorINS8_14TensorAccessorINS3_8ArrayRefIlEET_Lm4ENS7_16DefaultPtrTraitsElEENS_6detail16IndexBoundsCheckILm5ElEESD_Lm5ESE_lEENS9_INSA_ISC_KSD_Lm4ESE_lEESI_SK_Lm5ESE_lEElllll ; -- Begin function _ZN2at6native12_GLOBAL__N_136reflection_pad3d_backward_out_kernelIN3c107complexIfEEEEvN5torch10headeronly6detail27GenericPackedTensorAccessorINS8_14TensorAccessorINS3_8ArrayRefIlEET_Lm4ENS7_16DefaultPtrTraitsElEENS_6detail16IndexBoundsCheckILm5ElEESD_Lm5ESE_lEENS9_INSA_ISC_KSD_Lm4ESE_lEESI_SK_Lm5ESE_lEElllll
	.p2align	8
	.type	_ZN2at6native12_GLOBAL__N_136reflection_pad3d_backward_out_kernelIN3c107complexIfEEEEvN5torch10headeronly6detail27GenericPackedTensorAccessorINS8_14TensorAccessorINS3_8ArrayRefIlEET_Lm4ENS7_16DefaultPtrTraitsElEENS_6detail16IndexBoundsCheckILm5ElEESD_Lm5ESE_lEENS9_INSA_ISC_KSD_Lm4ESE_lEESI_SK_Lm5ESE_lEElllll,@function
_ZN2at6native12_GLOBAL__N_136reflection_pad3d_backward_out_kernelIN3c107complexIfEEEEvN5torch10headeronly6detail27GenericPackedTensorAccessorINS8_14TensorAccessorINS3_8ArrayRefIlEET_Lm4ENS7_16DefaultPtrTraitsElEENS_6detail16IndexBoundsCheckILm5ElEESD_Lm5ESE_lEENS9_INSA_ISC_KSD_Lm4ESE_lEESI_SK_Lm5ESE_lEElllll: ; @_ZN2at6native12_GLOBAL__N_136reflection_pad3d_backward_out_kernelIN3c107complexIfEEEEvN5torch10headeronly6detail27GenericPackedTensorAccessorINS8_14TensorAccessorINS3_8ArrayRefIlEET_Lm4ENS7_16DefaultPtrTraitsElEENS_6detail16IndexBoundsCheckILm5ElEESD_Lm5ESE_lEENS9_INSA_ISC_KSD_Lm4ESE_lEESI_SK_Lm5ESE_lEElllll
; %bb.0:
	s_load_dword s0, s[4:5], 0xe4
	s_load_dwordx4 s[12:15], s[4:5], 0x70
	s_load_dwordx2 s[10:11], s[4:5], 0x80
	v_mov_b32_e32 v2, 0
	v_mov_b32_e32 v1, v2
	s_waitcnt lgkmcnt(0)
	s_and_b32 s0, s0, 0xffff
	v_mov_b32_e32 v3, s6
	v_mad_u64_u32 v[0:1], s[0:1], s0, v3, v[0:1]
	s_mul_i32 s0, s10, s15
	s_mul_hi_u32 s1, s10, s14
	s_add_i32 s9, s1, s0
	s_mul_i32 s0, s11, s14
	s_mul_i32 s6, s10, s14
	s_add_i32 s9, s9, s0
	s_mul_i32 s0, s6, s13
	s_mul_hi_u32 s1, s6, s12
	s_add_i32 s0, s1, s0
	s_mul_i32 s1, s9, s12
	s_add_i32 s1, s0, s1
	s_mul_i32 s0, s6, s12
	v_cmp_gt_i64_e32 vcc, s[0:1], v[0:1]
	s_and_saveexec_b64 s[0:1], vcc
	s_cbranch_execz .LBB71_17
; %bb.1:
	v_or_b32_e32 v3, s11, v1
	v_cmp_ne_u64_e32 vcc, 0, v[2:3]
                                        ; implicit-def: $vgpr4_vgpr5
	s_and_saveexec_b64 s[0:1], vcc
	s_xor_b64 s[2:3], exec, s[0:1]
	s_cbranch_execz .LBB71_3
; %bb.2:
	s_ashr_i32 s12, s11, 31
	s_add_u32 s0, s10, s12
	s_mov_b32 s13, s12
	s_addc_u32 s1, s11, s12
	s_xor_b64 s[16:17], s[0:1], s[12:13]
	v_cvt_f32_u32_e32 v2, s16
	v_cvt_f32_u32_e32 v3, s17
	s_sub_u32 s0, 0, s16
	s_subb_u32 s1, 0, s17
	v_madmk_f32 v2, v3, 0x4f800000, v2
	v_rcp_f32_e32 v2, v2
	v_mul_f32_e32 v2, 0x5f7ffffc, v2
	v_mul_f32_e32 v3, 0x2f800000, v2
	v_trunc_f32_e32 v3, v3
	v_madmk_f32 v2, v3, 0xcf800000, v2
	v_cvt_u32_f32_e32 v3, v3
	v_cvt_u32_f32_e32 v2, v2
	v_mul_lo_u32 v4, s0, v3
	v_mul_hi_u32 v6, s0, v2
	v_mul_lo_u32 v5, s1, v2
	v_add_u32_e32 v4, v6, v4
	v_mul_lo_u32 v7, s0, v2
	v_add_u32_e32 v4, v4, v5
	v_mul_lo_u32 v6, v2, v4
	v_mul_hi_u32 v8, v2, v7
	v_mul_hi_u32 v5, v2, v4
	v_add_co_u32_e32 v6, vcc, v8, v6
	v_addc_co_u32_e32 v5, vcc, 0, v5, vcc
	v_mul_hi_u32 v9, v3, v7
	v_mul_lo_u32 v7, v3, v7
	v_add_co_u32_e32 v6, vcc, v6, v7
	v_mul_hi_u32 v8, v3, v4
	v_addc_co_u32_e32 v5, vcc, v5, v9, vcc
	v_addc_co_u32_e32 v6, vcc, 0, v8, vcc
	v_mul_lo_u32 v4, v3, v4
	v_add_co_u32_e32 v4, vcc, v5, v4
	v_addc_co_u32_e32 v5, vcc, 0, v6, vcc
	v_add_co_u32_e32 v2, vcc, v2, v4
	v_addc_co_u32_e32 v3, vcc, v3, v5, vcc
	v_mul_lo_u32 v4, s0, v3
	v_mul_hi_u32 v5, s0, v2
	v_add_u32_e32 v4, v5, v4
	v_mul_lo_u32 v5, s1, v2
	v_add_u32_e32 v4, v4, v5
	v_mul_lo_u32 v6, s0, v2
	v_mul_hi_u32 v7, v3, v6
	v_mul_lo_u32 v8, v3, v6
	v_mul_lo_u32 v10, v2, v4
	v_mul_hi_u32 v6, v2, v6
	v_mul_hi_u32 v9, v2, v4
	v_add_co_u32_e32 v6, vcc, v6, v10
	v_addc_co_u32_e32 v9, vcc, 0, v9, vcc
	v_add_co_u32_e32 v6, vcc, v6, v8
	v_mul_hi_u32 v5, v3, v4
	v_addc_co_u32_e32 v6, vcc, v9, v7, vcc
	v_addc_co_u32_e32 v5, vcc, 0, v5, vcc
	v_mul_lo_u32 v4, v3, v4
	v_add_co_u32_e32 v4, vcc, v6, v4
	v_addc_co_u32_e32 v5, vcc, 0, v5, vcc
	v_add_co_u32_e32 v4, vcc, v2, v4
	v_addc_co_u32_e32 v5, vcc, v3, v5, vcc
	v_ashrrev_i32_e32 v6, 31, v1
	v_add_co_u32_e32 v2, vcc, v0, v6
	v_addc_co_u32_e32 v3, vcc, v1, v6, vcc
	v_xor_b32_e32 v8, v2, v6
	v_xor_b32_e32 v7, v3, v6
	v_mad_u64_u32 v[2:3], s[0:1], v8, v5, 0
	v_mul_hi_u32 v9, v8, v4
	v_add_co_u32_e32 v9, vcc, v9, v2
	v_addc_co_u32_e32 v10, vcc, 0, v3, vcc
	v_mad_u64_u32 v[2:3], s[0:1], v7, v5, 0
	v_mad_u64_u32 v[4:5], s[0:1], v7, v4, 0
	v_add_co_u32_e32 v4, vcc, v9, v4
	v_addc_co_u32_e32 v4, vcc, v10, v5, vcc
	v_addc_co_u32_e32 v3, vcc, 0, v3, vcc
	v_add_co_u32_e32 v4, vcc, v4, v2
	v_addc_co_u32_e32 v5, vcc, 0, v3, vcc
	v_mul_lo_u32 v9, s17, v4
	v_mul_lo_u32 v10, s16, v5
	v_mad_u64_u32 v[2:3], s[0:1], s16, v4, 0
	v_add3_u32 v3, v3, v10, v9
	v_sub_u32_e32 v9, v7, v3
	v_mov_b32_e32 v10, s17
	v_sub_co_u32_e32 v2, vcc, v8, v2
	v_subb_co_u32_e64 v8, s[0:1], v9, v10, vcc
	v_subrev_co_u32_e64 v9, s[0:1], s16, v2
	v_subbrev_co_u32_e64 v8, s[0:1], 0, v8, s[0:1]
	v_cmp_le_u32_e64 s[0:1], s17, v8
	v_cndmask_b32_e64 v10, 0, -1, s[0:1]
	v_cmp_le_u32_e64 s[0:1], s16, v9
	v_cndmask_b32_e64 v9, 0, -1, s[0:1]
	v_cmp_eq_u32_e64 s[0:1], s17, v8
	v_cndmask_b32_e64 v8, v10, v9, s[0:1]
	v_add_co_u32_e64 v9, s[0:1], 2, v4
	v_subb_co_u32_e32 v3, vcc, v7, v3, vcc
	v_addc_co_u32_e64 v10, s[0:1], 0, v5, s[0:1]
	v_cmp_le_u32_e32 vcc, s17, v3
	v_add_co_u32_e64 v11, s[0:1], 1, v4
	v_cndmask_b32_e64 v7, 0, -1, vcc
	v_cmp_le_u32_e32 vcc, s16, v2
	v_addc_co_u32_e64 v12, s[0:1], 0, v5, s[0:1]
	v_cndmask_b32_e64 v2, 0, -1, vcc
	v_cmp_eq_u32_e32 vcc, s17, v3
	v_cmp_ne_u32_e64 s[0:1], 0, v8
	v_cndmask_b32_e32 v2, v7, v2, vcc
	v_cndmask_b32_e64 v8, v12, v10, s[0:1]
	v_cmp_ne_u32_e32 vcc, 0, v2
	v_cndmask_b32_e64 v3, v11, v9, s[0:1]
	v_cndmask_b32_e32 v2, v5, v8, vcc
	v_cndmask_b32_e32 v3, v4, v3, vcc
	v_xor_b32_e32 v5, s12, v6
	v_xor_b32_e32 v3, v3, v5
	;; [unrolled: 1-line block ×3, first 2 shown]
	v_sub_co_u32_e32 v4, vcc, v3, v5
	v_subb_co_u32_e32 v5, vcc, v2, v5, vcc
.LBB71_3:
	s_andn2_saveexec_b64 s[0:1], s[2:3]
	s_cbranch_execz .LBB71_5
; %bb.4:
	v_cvt_f32_u32_e32 v2, s10
	s_sub_i32 s2, 0, s10
	v_rcp_iflag_f32_e32 v2, v2
	v_mul_f32_e32 v2, 0x4f7ffffe, v2
	v_cvt_u32_f32_e32 v2, v2
	v_mul_lo_u32 v3, s2, v2
	v_mul_hi_u32 v3, v2, v3
	v_add_u32_e32 v2, v2, v3
	v_mul_hi_u32 v2, v0, v2
	v_mul_lo_u32 v3, v2, s10
	v_sub_u32_e32 v3, v0, v3
	v_add_u32_e32 v4, 1, v2
	v_subrev_u32_e32 v5, s10, v3
	v_cmp_le_u32_e32 vcc, s10, v3
	v_cndmask_b32_e32 v3, v3, v5, vcc
	v_cndmask_b32_e32 v2, v2, v4, vcc
	v_add_u32_e32 v4, 1, v2
	v_cmp_le_u32_e32 vcc, s10, v3
	v_cndmask_b32_e32 v4, v2, v4, vcc
	v_mov_b32_e32 v5, 0
.LBB71_5:
	s_or_b64 exec, exec, s[0:1]
	v_or_b32_e32 v3, s15, v5
	v_mov_b32_e32 v2, 0
	v_cmp_ne_u64_e32 vcc, 0, v[2:3]
                                        ; implicit-def: $vgpr2_vgpr3
	s_and_saveexec_b64 s[0:1], vcc
	s_xor_b64 s[12:13], exec, s[0:1]
	s_cbranch_execz .LBB71_7
; %bb.6:
	s_ashr_i32 s0, s15, 31
	s_add_u32 s2, s14, s0
	s_mov_b32 s1, s0
	s_addc_u32 s3, s15, s0
	s_xor_b64 s[16:17], s[2:3], s[0:1]
	v_cvt_f32_u32_e32 v2, s16
	v_cvt_f32_u32_e32 v3, s17
	s_sub_u32 s0, 0, s16
	s_subb_u32 s1, 0, s17
	v_madmk_f32 v2, v3, 0x4f800000, v2
	v_rcp_f32_e32 v2, v2
	v_mul_f32_e32 v2, 0x5f7ffffc, v2
	v_mul_f32_e32 v3, 0x2f800000, v2
	v_trunc_f32_e32 v3, v3
	v_madmk_f32 v2, v3, 0xcf800000, v2
	v_cvt_u32_f32_e32 v3, v3
	v_cvt_u32_f32_e32 v2, v2
	v_mul_lo_u32 v6, s0, v3
	v_mul_hi_u32 v8, s0, v2
	v_mul_lo_u32 v7, s1, v2
	v_add_u32_e32 v6, v8, v6
	v_mul_lo_u32 v9, s0, v2
	v_add_u32_e32 v6, v6, v7
	v_mul_lo_u32 v8, v2, v6
	v_mul_hi_u32 v10, v2, v9
	v_mul_hi_u32 v7, v2, v6
	v_add_co_u32_e32 v8, vcc, v10, v8
	v_addc_co_u32_e32 v7, vcc, 0, v7, vcc
	v_mul_hi_u32 v11, v3, v9
	v_mul_lo_u32 v9, v3, v9
	v_add_co_u32_e32 v8, vcc, v8, v9
	v_mul_hi_u32 v10, v3, v6
	v_addc_co_u32_e32 v7, vcc, v7, v11, vcc
	v_addc_co_u32_e32 v8, vcc, 0, v10, vcc
	v_mul_lo_u32 v6, v3, v6
	v_add_co_u32_e32 v6, vcc, v7, v6
	v_addc_co_u32_e32 v7, vcc, 0, v8, vcc
	v_add_co_u32_e32 v2, vcc, v2, v6
	v_addc_co_u32_e32 v3, vcc, v3, v7, vcc
	v_mul_lo_u32 v6, s0, v3
	v_mul_hi_u32 v7, s0, v2
	v_add_u32_e32 v6, v7, v6
	v_mul_lo_u32 v7, s1, v2
	v_add_u32_e32 v6, v6, v7
	v_mul_lo_u32 v8, s0, v2
	v_mul_hi_u32 v9, v3, v8
	v_mul_lo_u32 v10, v3, v8
	v_mul_lo_u32 v12, v2, v6
	v_mul_hi_u32 v8, v2, v8
	v_mul_hi_u32 v11, v2, v6
	v_add_co_u32_e32 v8, vcc, v8, v12
	v_addc_co_u32_e32 v11, vcc, 0, v11, vcc
	v_add_co_u32_e32 v8, vcc, v8, v10
	v_mul_hi_u32 v7, v3, v6
	v_addc_co_u32_e32 v8, vcc, v11, v9, vcc
	v_addc_co_u32_e32 v7, vcc, 0, v7, vcc
	v_mul_lo_u32 v6, v3, v6
	v_add_co_u32_e32 v6, vcc, v8, v6
	v_addc_co_u32_e32 v7, vcc, 0, v7, vcc
	v_add_co_u32_e32 v6, vcc, v2, v6
	v_addc_co_u32_e32 v7, vcc, v3, v7, vcc
	v_ashrrev_i32_e32 v8, 31, v5
	v_add_co_u32_e32 v2, vcc, v4, v8
	v_addc_co_u32_e32 v3, vcc, v5, v8, vcc
	v_xor_b32_e32 v10, v2, v8
	v_xor_b32_e32 v9, v3, v8
	v_mad_u64_u32 v[2:3], s[0:1], v10, v7, 0
	v_mul_hi_u32 v11, v10, v6
	v_add_co_u32_e32 v11, vcc, v11, v2
	v_addc_co_u32_e32 v12, vcc, 0, v3, vcc
	v_mad_u64_u32 v[2:3], s[0:1], v9, v7, 0
	v_mad_u64_u32 v[6:7], s[0:1], v9, v6, 0
	v_add_co_u32_e32 v6, vcc, v11, v6
	v_addc_co_u32_e32 v6, vcc, v12, v7, vcc
	v_addc_co_u32_e32 v3, vcc, 0, v3, vcc
	v_add_co_u32_e32 v2, vcc, v6, v2
	v_addc_co_u32_e32 v3, vcc, 0, v3, vcc
	v_mul_lo_u32 v6, s17, v2
	v_mul_lo_u32 v7, s16, v3
	v_mad_u64_u32 v[2:3], s[0:1], s16, v2, 0
	v_add3_u32 v3, v3, v7, v6
	v_sub_u32_e32 v6, v9, v3
	v_mov_b32_e32 v7, s17
	v_sub_co_u32_e32 v2, vcc, v10, v2
	v_subb_co_u32_e64 v6, s[0:1], v6, v7, vcc
	v_subrev_co_u32_e64 v10, s[0:1], s16, v2
	v_subbrev_co_u32_e64 v11, s[2:3], 0, v6, s[0:1]
	v_cmp_le_u32_e64 s[2:3], s17, v11
	v_cndmask_b32_e64 v12, 0, -1, s[2:3]
	v_cmp_le_u32_e64 s[2:3], s16, v10
	v_subb_co_u32_e64 v6, s[0:1], v6, v7, s[0:1]
	v_cndmask_b32_e64 v13, 0, -1, s[2:3]
	v_cmp_eq_u32_e64 s[2:3], s17, v11
	v_subrev_co_u32_e64 v7, s[0:1], s16, v10
	v_subb_co_u32_e32 v3, vcc, v9, v3, vcc
	v_cndmask_b32_e64 v12, v12, v13, s[2:3]
	v_subbrev_co_u32_e64 v6, s[0:1], 0, v6, s[0:1]
	v_cmp_le_u32_e32 vcc, s17, v3
	v_cmp_ne_u32_e64 s[0:1], 0, v12
	v_cndmask_b32_e64 v9, 0, -1, vcc
	v_cmp_le_u32_e32 vcc, s16, v2
	v_cndmask_b32_e64 v6, v11, v6, s[0:1]
	v_cndmask_b32_e64 v11, 0, -1, vcc
	v_cmp_eq_u32_e32 vcc, s17, v3
	v_cndmask_b32_e32 v9, v9, v11, vcc
	v_cmp_ne_u32_e32 vcc, 0, v9
	v_cndmask_b32_e32 v3, v3, v6, vcc
	v_cndmask_b32_e64 v6, v10, v7, s[0:1]
	v_cndmask_b32_e32 v2, v2, v6, vcc
	v_xor_b32_e32 v2, v2, v8
	v_xor_b32_e32 v3, v3, v8
	v_sub_co_u32_e32 v2, vcc, v2, v8
	v_subb_co_u32_e32 v3, vcc, v3, v8, vcc
.LBB71_7:
	s_or_saveexec_b64 s[0:1], s[12:13]
	s_load_dwordx2 s[2:3], s[4:5], 0xa8
	s_load_dwordx8 s[36:43], s[4:5], 0x88
	s_xor_b64 exec, exec, s[0:1]
	s_cbranch_execz .LBB71_9
; %bb.8:
	v_cvt_f32_u32_e32 v2, s14
	s_sub_i32 s12, 0, s14
	v_rcp_iflag_f32_e32 v2, v2
	v_mul_f32_e32 v2, 0x4f7ffffe, v2
	v_cvt_u32_f32_e32 v2, v2
	v_mul_lo_u32 v3, s12, v2
	v_mul_hi_u32 v3, v2, v3
	v_add_u32_e32 v2, v2, v3
	v_mul_hi_u32 v2, v4, v2
	v_mul_lo_u32 v2, v2, s14
	v_sub_u32_e32 v2, v4, v2
	v_subrev_u32_e32 v3, s14, v2
	v_cmp_le_u32_e32 vcc, s14, v2
	v_cndmask_b32_e32 v2, v2, v3, vcc
	v_subrev_u32_e32 v3, s14, v2
	v_cmp_le_u32_e32 vcc, s14, v2
	v_cndmask_b32_e32 v2, v2, v3, vcc
	v_mov_b32_e32 v3, 0
.LBB71_9:
	s_or_b64 exec, exec, s[0:1]
	s_load_dwordx2 s[30:31], s[4:5], 0x58
	s_load_dwordx2 s[28:29], s[4:5], 0x0
	v_or_b32_e32 v7, s9, v1
	v_mov_b32_e32 v6, 0
	v_cmp_ne_u64_e32 vcc, 0, v[6:7]
                                        ; implicit-def: $vgpr6_vgpr7
	s_and_saveexec_b64 s[0:1], vcc
	s_xor_b64 s[12:13], exec, s[0:1]
	s_cbranch_execz .LBB71_11
; %bb.10:
	s_ashr_i32 s14, s9, 31
	s_add_u32 s0, s6, s14
	s_mov_b32 s15, s14
	s_addc_u32 s1, s9, s14
	s_xor_b64 s[16:17], s[0:1], s[14:15]
	v_cvt_f32_u32_e32 v6, s16
	v_cvt_f32_u32_e32 v7, s17
	s_sub_u32 s0, 0, s16
	s_subb_u32 s1, 0, s17
	v_madmk_f32 v6, v7, 0x4f800000, v6
	v_rcp_f32_e32 v6, v6
	v_mul_f32_e32 v6, 0x5f7ffffc, v6
	v_mul_f32_e32 v7, 0x2f800000, v6
	v_trunc_f32_e32 v7, v7
	v_madmk_f32 v6, v7, 0xcf800000, v6
	v_cvt_u32_f32_e32 v7, v7
	v_cvt_u32_f32_e32 v6, v6
	v_mul_lo_u32 v8, s0, v7
	v_mul_hi_u32 v10, s0, v6
	v_mul_lo_u32 v9, s1, v6
	v_add_u32_e32 v8, v10, v8
	v_mul_lo_u32 v11, s0, v6
	v_add_u32_e32 v8, v8, v9
	v_mul_lo_u32 v10, v6, v8
	v_mul_hi_u32 v12, v6, v11
	v_mul_hi_u32 v9, v6, v8
	v_add_co_u32_e32 v10, vcc, v12, v10
	v_addc_co_u32_e32 v9, vcc, 0, v9, vcc
	v_mul_hi_u32 v13, v7, v11
	v_mul_lo_u32 v11, v7, v11
	v_add_co_u32_e32 v10, vcc, v10, v11
	v_mul_hi_u32 v12, v7, v8
	v_addc_co_u32_e32 v9, vcc, v9, v13, vcc
	v_addc_co_u32_e32 v10, vcc, 0, v12, vcc
	v_mul_lo_u32 v8, v7, v8
	v_add_co_u32_e32 v8, vcc, v9, v8
	v_addc_co_u32_e32 v9, vcc, 0, v10, vcc
	v_add_co_u32_e32 v6, vcc, v6, v8
	v_addc_co_u32_e32 v7, vcc, v7, v9, vcc
	v_mul_lo_u32 v8, s0, v7
	v_mul_hi_u32 v9, s0, v6
	v_add_u32_e32 v8, v9, v8
	v_mul_lo_u32 v9, s1, v6
	v_add_u32_e32 v8, v8, v9
	v_mul_lo_u32 v10, s0, v6
	v_mul_hi_u32 v11, v7, v10
	v_mul_lo_u32 v12, v7, v10
	v_mul_lo_u32 v14, v6, v8
	v_mul_hi_u32 v10, v6, v10
	v_mul_hi_u32 v13, v6, v8
	v_add_co_u32_e32 v10, vcc, v10, v14
	v_addc_co_u32_e32 v13, vcc, 0, v13, vcc
	v_add_co_u32_e32 v10, vcc, v10, v12
	v_mul_hi_u32 v9, v7, v8
	v_addc_co_u32_e32 v10, vcc, v13, v11, vcc
	v_addc_co_u32_e32 v9, vcc, 0, v9, vcc
	v_mul_lo_u32 v8, v7, v8
	v_add_co_u32_e32 v8, vcc, v10, v8
	v_addc_co_u32_e32 v9, vcc, 0, v9, vcc
	v_add_co_u32_e32 v8, vcc, v6, v8
	v_addc_co_u32_e32 v9, vcc, v7, v9, vcc
	v_ashrrev_i32_e32 v10, 31, v1
	v_add_co_u32_e32 v6, vcc, v0, v10
	v_addc_co_u32_e32 v7, vcc, v1, v10, vcc
	v_xor_b32_e32 v12, v6, v10
	v_xor_b32_e32 v11, v7, v10
	v_mad_u64_u32 v[6:7], s[0:1], v12, v9, 0
	v_mul_hi_u32 v13, v12, v8
	v_add_co_u32_e32 v13, vcc, v13, v6
	v_addc_co_u32_e32 v14, vcc, 0, v7, vcc
	v_mad_u64_u32 v[6:7], s[0:1], v11, v9, 0
	v_mad_u64_u32 v[8:9], s[0:1], v11, v8, 0
	v_add_co_u32_e32 v8, vcc, v13, v8
	v_addc_co_u32_e32 v8, vcc, v14, v9, vcc
	v_addc_co_u32_e32 v7, vcc, 0, v7, vcc
	v_add_co_u32_e32 v8, vcc, v8, v6
	v_addc_co_u32_e32 v9, vcc, 0, v7, vcc
	v_mul_lo_u32 v13, s17, v8
	v_mul_lo_u32 v14, s16, v9
	v_mad_u64_u32 v[6:7], s[0:1], s16, v8, 0
	v_add3_u32 v7, v7, v14, v13
	v_sub_u32_e32 v13, v11, v7
	v_mov_b32_e32 v14, s17
	v_sub_co_u32_e32 v6, vcc, v12, v6
	v_subb_co_u32_e64 v12, s[0:1], v13, v14, vcc
	v_subrev_co_u32_e64 v13, s[0:1], s16, v6
	v_subbrev_co_u32_e64 v12, s[0:1], 0, v12, s[0:1]
	v_cmp_le_u32_e64 s[0:1], s17, v12
	v_cndmask_b32_e64 v14, 0, -1, s[0:1]
	v_cmp_le_u32_e64 s[0:1], s16, v13
	v_cndmask_b32_e64 v13, 0, -1, s[0:1]
	v_cmp_eq_u32_e64 s[0:1], s17, v12
	v_cndmask_b32_e64 v12, v14, v13, s[0:1]
	v_add_co_u32_e64 v13, s[0:1], 2, v8
	v_subb_co_u32_e32 v7, vcc, v11, v7, vcc
	v_addc_co_u32_e64 v14, s[0:1], 0, v9, s[0:1]
	v_cmp_le_u32_e32 vcc, s17, v7
	v_add_co_u32_e64 v15, s[0:1], 1, v8
	v_cndmask_b32_e64 v11, 0, -1, vcc
	v_cmp_le_u32_e32 vcc, s16, v6
	v_addc_co_u32_e64 v16, s[0:1], 0, v9, s[0:1]
	v_cndmask_b32_e64 v6, 0, -1, vcc
	v_cmp_eq_u32_e32 vcc, s17, v7
	v_cmp_ne_u32_e64 s[0:1], 0, v12
	v_cndmask_b32_e32 v6, v11, v6, vcc
	v_cndmask_b32_e64 v12, v16, v14, s[0:1]
	v_cmp_ne_u32_e32 vcc, 0, v6
	v_cndmask_b32_e64 v7, v15, v13, s[0:1]
	v_cndmask_b32_e32 v6, v9, v12, vcc
	v_cndmask_b32_e32 v7, v8, v7, vcc
	v_xor_b32_e32 v8, s14, v10
	v_xor_b32_e32 v9, v6, v8
	;; [unrolled: 1-line block ×3, first 2 shown]
	v_sub_co_u32_e32 v6, vcc, v6, v8
	v_subb_co_u32_e32 v7, vcc, v9, v8, vcc
.LBB71_11:
	s_or_saveexec_b64 s[0:1], s[12:13]
	s_load_dwordx16 s[12:27], s[4:5], 0x18
	s_xor_b64 exec, exec, s[0:1]
	s_cbranch_execz .LBB71_13
; %bb.12:
	v_cvt_f32_u32_e32 v6, s6
	s_sub_i32 s9, 0, s6
	v_rcp_iflag_f32_e32 v6, v6
	v_mul_f32_e32 v6, 0x4f7ffffe, v6
	v_cvt_u32_f32_e32 v6, v6
	v_mul_lo_u32 v7, s9, v6
	v_mul_hi_u32 v7, v6, v7
	v_add_u32_e32 v6, v6, v7
	v_mul_hi_u32 v6, v0, v6
	v_mul_lo_u32 v7, v6, s6
	v_sub_u32_e32 v7, v0, v7
	v_add_u32_e32 v8, 1, v6
	v_subrev_u32_e32 v9, s6, v7
	v_cmp_le_u32_e32 vcc, s6, v7
	v_cndmask_b32_e32 v7, v7, v9, vcc
	v_cndmask_b32_e32 v6, v6, v8, vcc
	v_add_u32_e32 v8, 1, v6
	v_cmp_le_u32_e32 vcc, s6, v7
	v_cndmask_b32_e32 v6, v6, v8, vcc
	v_mov_b32_e32 v7, 0
.LBB71_13:
	s_or_b64 exec, exec, s[0:1]
	s_load_dwordx8 s[44:51], s[4:5], 0xb0
	v_mul_lo_u32 v8, v5, s10
	v_mul_lo_u32 v9, v4, s11
	v_mad_u64_u32 v[4:5], s[0:1], v4, s10, 0
	s_load_dwordx2 s[0:1], s[4:5], 0xd0
	s_waitcnt lgkmcnt(0)
	s_sub_u32 s4, 0, s44
	s_subb_u32 s5, 0, s45
	s_sub_u32 s10, 0, s46
	s_subb_u32 s11, 0, s47
	s_sub_u32 s34, 0, s48
	s_subb_u32 s35, 0, s49
	v_cmp_gt_i64_e64 s[52:53], s[4:5], 0
	s_and_b64 s[52:53], s[52:53], exec
	s_cselect_b32 s6, s5, 0
	s_cselect_b32 s9, s4, 0
	v_cmp_gt_i64_e64 s[4:5], s[44:45], 0
	s_and_b64 s[4:5], s[4:5], exec
	v_cmp_gt_i64_e64 s[4:5], s[10:11], 0
	s_cselect_b32 s53, s45, 0
	s_cselect_b32 s52, s44, 0
	s_and_b64 s[4:5], s[4:5], exec
	v_add3_u32 v5, v5, v9, v8
	v_sub_co_u32_e32 v4, vcc, v0, v4
	v_cmp_gt_i64_e64 s[4:5], s[46:47], 0
	v_subb_co_u32_e32 v5, vcc, v1, v5, vcc
	s_cselect_b32 s33, s11, 0
	s_cselect_b32 s54, s10, 0
	s_and_b64 s[4:5], s[4:5], exec
	v_cmp_gt_i64_e64 s[4:5], s[34:35], 0
	v_mov_b32_e32 v1, s45
	v_subrev_co_u32_e32 v0, vcc, s44, v4
	s_cselect_b32 s11, s47, 0
	s_cselect_b32 s10, s46, 0
	s_and_b64 s[4:5], s[4:5], exec
	v_subb_co_u32_e32 v1, vcc, v5, v1, vcc
	v_cmp_gt_i64_e64 s[4:5], s[48:49], 0
	v_ashrrev_i32_e32 v8, 31, v1
	s_cselect_b32 s55, s35, 0
	s_cselect_b32 s56, s34, 0
	s_and_b64 s[4:5], s[4:5], exec
	v_xor_b32_e32 v0, v0, v8
	s_cselect_b32 s5, s49, 0
	s_cselect_b32 s4, s48, 0
	v_xor_b32_e32 v1, v1, v8
	v_sub_co_u32_e32 v9, vcc, v0, v8
	s_add_u32 s34, s16, s44
	v_subb_co_u32_e32 v8, vcc, v1, v8, vcc
	s_addc_u32 s35, s17, s45
	v_mov_b32_e32 v1, s35
	v_subrev_co_u32_e32 v0, vcc, s34, v4
	v_subb_co_u32_e32 v1, vcc, v5, v1, vcc
	v_add_co_u32_e32 v0, vcc, 1, v0
	v_addc_co_u32_e32 v1, vcc, 0, v1, vcc
	s_lshl_b64 s[34:35], s[44:45], 1
	s_not_b64 s[44:45], s[52:53]
	v_ashrrev_i32_e32 v10, 31, v1
	s_add_u32 s34, s34, s44
	v_xor_b32_e32 v0, v0, v10
	s_addc_u32 s35, s35, s45
	v_xor_b32_e32 v1, v1, v10
	v_sub_co_u32_e32 v0, vcc, v0, v10
	s_add_u32 s9, s34, s9
	v_subb_co_u32_e32 v1, vcc, v1, v10, vcc
	s_addc_u32 s6, s35, s6
	s_add_u32 s9, s9, s16
	v_add_co_u32_e32 v0, vcc, v4, v0
	s_addc_u32 s6, s6, s17
	v_addc_co_u32_e32 v1, vcc, v5, v1, vcc
	v_mov_b32_e32 v10, s6
	v_sub_co_u32_e32 v0, vcc, s9, v0
	v_subb_co_u32_e32 v1, vcc, v10, v1, vcc
	v_add_co_u32_e32 v9, vcc, v0, v9
	v_addc_co_u32_e32 v8, vcc, v1, v8, vcc
	v_mov_b32_e32 v0, s47
	v_subrev_co_u32_e32 v1, vcc, s46, v2
	v_subb_co_u32_e32 v0, vcc, v3, v0, vcc
	v_ashrrev_i32_e32 v10, 31, v0
	v_xor_b32_e32 v1, v1, v10
	v_xor_b32_e32 v0, v0, v10
	v_sub_co_u32_e32 v1, vcc, v1, v10
	s_add_u32 s6, s14, s46
	v_subb_co_u32_e32 v0, vcc, v0, v10, vcc
	s_addc_u32 s9, s15, s47
	v_mov_b32_e32 v10, s9
	v_subrev_co_u32_e32 v11, vcc, s6, v2
	v_subb_co_u32_e32 v10, vcc, v3, v10, vcc
	v_add_co_u32_e32 v11, vcc, 1, v11
	v_addc_co_u32_e32 v10, vcc, 0, v10, vcc
	s_lshl_b64 s[16:17], s[46:47], 1
	s_not_b64 s[10:11], s[10:11]
	v_ashrrev_i32_e32 v12, 31, v10
	s_add_u32 s6, s16, s10
	v_xor_b32_e32 v11, v11, v12
	s_addc_u32 s9, s17, s11
	v_xor_b32_e32 v10, v10, v12
	v_sub_co_u32_e32 v11, vcc, v11, v12
	s_add_u32 s6, s6, s54
	v_subb_co_u32_e32 v10, vcc, v10, v12, vcc
	s_addc_u32 s9, s9, s33
	s_add_u32 s6, s6, s14
	v_add_co_u32_e32 v11, vcc, v2, v11
	s_addc_u32 s9, s9, s15
	v_addc_co_u32_e32 v10, vcc, v3, v10, vcc
	v_mov_b32_e32 v12, s9
	v_sub_co_u32_e32 v11, vcc, s6, v11
	v_subb_co_u32_e32 v10, vcc, v12, v10, vcc
	v_add_co_u32_e32 v11, vcc, v11, v1
	v_addc_co_u32_e32 v10, vcc, v10, v0, vcc
	v_mov_b32_e32 v0, s49
	v_subrev_co_u32_e32 v1, vcc, s48, v6
	v_subb_co_u32_e32 v0, vcc, v7, v0, vcc
	v_ashrrev_i32_e32 v12, 31, v0
	v_xor_b32_e32 v1, v1, v12
	v_xor_b32_e32 v0, v0, v12
	v_sub_co_u32_e32 v1, vcc, v1, v12
	s_add_u32 s6, s12, s48
	v_subb_co_u32_e32 v0, vcc, v0, v12, vcc
	s_addc_u32 s9, s13, s49
	v_mov_b32_e32 v12, s9
	v_subrev_co_u32_e32 v13, vcc, s6, v6
	v_subb_co_u32_e32 v12, vcc, v7, v12, vcc
	v_add_co_u32_e32 v13, vcc, 1, v13
	v_addc_co_u32_e32 v12, vcc, 0, v12, vcc
	s_lshl_b64 s[10:11], s[48:49], 1
	s_not_b64 s[4:5], s[4:5]
	v_ashrrev_i32_e32 v14, 31, v12
	s_add_u32 s4, s10, s4
	v_xor_b32_e32 v13, v13, v14
	s_addc_u32 s5, s11, s5
	v_xor_b32_e32 v12, v12, v14
	v_sub_co_u32_e32 v13, vcc, v13, v14
	s_add_u32 s4, s4, s56
	v_subb_co_u32_e32 v12, vcc, v12, v14, vcc
	s_addc_u32 s5, s5, s55
	s_add_u32 s4, s4, s12
	v_add_co_u32_e32 v13, vcc, v6, v13
	s_addc_u32 s5, s5, s13
	v_addc_co_u32_e32 v12, vcc, v7, v12, vcc
	v_sub_co_u32_e32 v13, vcc, s4, v13
	s_add_u32 s4, s7, s50
	v_mov_b32_e32 v14, s5
	s_addc_u32 s5, 0, s51
	s_add_u32 s6, s8, s0
	s_addc_u32 s7, 0, s1
	s_mul_i32 s0, s36, s7
	s_mul_hi_u32 s1, s36, s6
	s_add_i32 s0, s1, s0
	s_mul_i32 s1, s37, s6
	s_add_i32 s1, s0, s1
	s_mul_i32 s0, s36, s6
	s_lshl_b64 s[0:1], s[0:1], 3
	s_add_u32 s8, s30, s0
	s_addc_u32 s9, s31, s1
	s_mul_i32 s0, s38, s5
	s_mul_hi_u32 s1, s38, s4
	s_add_i32 s0, s1, s0
	s_mul_i32 s1, s39, s4
	s_add_i32 s1, s0, s1
	s_mul_i32 s0, s38, s4
	v_subb_co_u32_e32 v12, vcc, v14, v12, vcc
	s_lshl_b64 s[0:1], s[0:1], 3
	v_add_co_u32_e32 v13, vcc, v13, v1
	s_add_u32 s8, s8, s0
	v_addc_co_u32_e32 v12, vcc, v12, v0, vcc
	s_addc_u32 s9, s9, s1
	v_mul_lo_u32 v7, v7, s40
	v_mul_lo_u32 v14, v6, s41
	v_mad_u64_u32 v[0:1], s[0:1], v6, s40, 0
	v_add3_u32 v1, v1, v14, v7
	v_lshlrev_b64 v[0:1], 3, v[0:1]
	v_mov_b32_e32 v6, s9
	v_add_co_u32_e32 v7, vcc, s8, v0
	v_addc_co_u32_e32 v6, vcc, v6, v1, vcc
	v_mul_lo_u32 v3, v3, s42
	v_mul_lo_u32 v14, v2, s43
	v_mad_u64_u32 v[0:1], s[0:1], v2, s42, 0
	v_add3_u32 v1, v1, v14, v3
	v_lshlrev_b64 v[0:1], 3, v[0:1]
	v_add_co_u32_e32 v2, vcc, v7, v0
	v_addc_co_u32_e32 v3, vcc, v6, v1, vcc
	v_mad_u64_u32 v[0:1], s[0:1], v4, s2, 0
	s_mul_i32 s0, s18, s7
	s_mul_hi_u32 s1, s18, s6
	s_add_i32 s0, s1, s0
	s_mul_i32 s1, s19, s6
	s_add_i32 s1, s0, s1
	s_mul_i32 s0, s18, s6
	s_lshl_b64 s[0:1], s[0:1], 3
	v_mul_lo_u32 v5, v5, s2
	s_add_u32 s2, s28, s0
	v_mul_lo_u32 v6, v4, s3
	s_addc_u32 s3, s29, s1
	s_mul_i32 s0, s20, s5
	s_mul_hi_u32 s1, s20, s4
	s_add_i32 s0, s1, s0
	s_mul_i32 s1, s21, s4
	v_add3_u32 v1, v1, v6, v5
	s_add_i32 s1, s0, s1
	s_mul_i32 s0, s20, s4
	v_lshlrev_b64 v[0:1], 3, v[0:1]
	s_lshl_b64 s[0:1], s[0:1], 3
	v_add_co_u32_e32 v0, vcc, v2, v0
	s_add_u32 s2, s2, s0
	v_addc_co_u32_e32 v1, vcc, v3, v1, vcc
	s_addc_u32 s3, s3, s1
	v_mul_lo_u32 v4, v12, s22
	v_mul_lo_u32 v5, v13, s23
	v_mad_u64_u32 v[2:3], s[0:1], v13, s22, 0
	v_add3_u32 v3, v3, v5, v4
	v_lshlrev_b64 v[2:3], 3, v[2:3]
	v_mov_b32_e32 v4, s3
	v_add_co_u32_e32 v5, vcc, s2, v2
	v_addc_co_u32_e32 v4, vcc, v4, v3, vcc
	v_mul_lo_u32 v6, v10, s24
	v_mul_lo_u32 v7, v11, s25
	v_mad_u64_u32 v[2:3], s[0:1], v11, s24, 0
	v_add3_u32 v3, v3, v7, v6
	v_lshlrev_b64 v[2:3], 3, v[2:3]
	v_add_co_u32_e32 v5, vcc, v5, v2
	v_addc_co_u32_e32 v4, vcc, v4, v3, vcc
	v_mul_lo_u32 v6, v8, s26
	v_mul_lo_u32 v7, v9, s27
	v_mad_u64_u32 v[2:3], s[0:1], v9, s26, 0
	v_add3_u32 v3, v3, v7, v6
	v_lshlrev_b64 v[2:3], 3, v[2:3]
	v_add_co_u32_e32 v2, vcc, v5, v2
	v_addc_co_u32_e32 v3, vcc, v4, v3, vcc
	global_load_dwordx2 v[0:1], v[0:1], off
	s_mov_b64 s[0:1], 0
	global_load_dword v5, v[2:3], off
.LBB71_14:                              ; =>This Inner Loop Header: Depth=1
	s_waitcnt vmcnt(0)
	v_add_f32_e32 v4, v5, v0
	global_atomic_cmpswap v4, v[2:3], v[4:5], off glc
	s_waitcnt vmcnt(0)
	v_cmp_eq_u32_e32 vcc, v4, v5
	s_or_b64 s[0:1], vcc, s[0:1]
	v_mov_b32_e32 v5, v4
	s_andn2_b64 exec, exec, s[0:1]
	s_cbranch_execnz .LBB71_14
; %bb.15:
	s_or_b64 exec, exec, s[0:1]
	global_load_dword v5, v[2:3], off offset:4
	s_mov_b64 s[0:1], 0
.LBB71_16:                              ; =>This Inner Loop Header: Depth=1
	s_waitcnt vmcnt(0)
	v_add_f32_e32 v4, v5, v1
	global_atomic_cmpswap v0, v[2:3], v[4:5], off offset:4 glc
	s_waitcnt vmcnt(0)
	v_cmp_eq_u32_e32 vcc, v0, v5
	s_or_b64 s[0:1], vcc, s[0:1]
	v_mov_b32_e32 v5, v0
	s_andn2_b64 exec, exec, s[0:1]
	s_cbranch_execnz .LBB71_16
.LBB71_17:
	s_endpgm
	.section	.rodata,"a",@progbits
	.p2align	6, 0x0
	.amdhsa_kernel _ZN2at6native12_GLOBAL__N_136reflection_pad3d_backward_out_kernelIN3c107complexIfEEEEvN5torch10headeronly6detail27GenericPackedTensorAccessorINS8_14TensorAccessorINS3_8ArrayRefIlEET_Lm4ENS7_16DefaultPtrTraitsElEENS_6detail16IndexBoundsCheckILm5ElEESD_Lm5ESE_lEENS9_INSA_ISC_KSD_Lm4ESE_lEESI_SK_Lm5ESE_lEElllll
		.amdhsa_group_segment_fixed_size 0
		.amdhsa_private_segment_fixed_size 0
		.amdhsa_kernarg_size 472
		.amdhsa_user_sgpr_count 6
		.amdhsa_user_sgpr_private_segment_buffer 1
		.amdhsa_user_sgpr_dispatch_ptr 0
		.amdhsa_user_sgpr_queue_ptr 0
		.amdhsa_user_sgpr_kernarg_segment_ptr 1
		.amdhsa_user_sgpr_dispatch_id 0
		.amdhsa_user_sgpr_flat_scratch_init 0
		.amdhsa_user_sgpr_kernarg_preload_length 0
		.amdhsa_user_sgpr_kernarg_preload_offset 0
		.amdhsa_user_sgpr_private_segment_size 0
		.amdhsa_uses_dynamic_stack 0
		.amdhsa_system_sgpr_private_segment_wavefront_offset 0
		.amdhsa_system_sgpr_workgroup_id_x 1
		.amdhsa_system_sgpr_workgroup_id_y 1
		.amdhsa_system_sgpr_workgroup_id_z 1
		.amdhsa_system_sgpr_workgroup_info 0
		.amdhsa_system_vgpr_workitem_id 0
		.amdhsa_next_free_vgpr 17
		.amdhsa_next_free_sgpr 57
		.amdhsa_accum_offset 20
		.amdhsa_reserve_vcc 1
		.amdhsa_reserve_flat_scratch 0
		.amdhsa_float_round_mode_32 0
		.amdhsa_float_round_mode_16_64 0
		.amdhsa_float_denorm_mode_32 3
		.amdhsa_float_denorm_mode_16_64 3
		.amdhsa_dx10_clamp 1
		.amdhsa_ieee_mode 1
		.amdhsa_fp16_overflow 0
		.amdhsa_tg_split 0
		.amdhsa_exception_fp_ieee_invalid_op 0
		.amdhsa_exception_fp_denorm_src 0
		.amdhsa_exception_fp_ieee_div_zero 0
		.amdhsa_exception_fp_ieee_overflow 0
		.amdhsa_exception_fp_ieee_underflow 0
		.amdhsa_exception_fp_ieee_inexact 0
		.amdhsa_exception_int_div_zero 0
	.end_amdhsa_kernel
	.section	.text._ZN2at6native12_GLOBAL__N_136reflection_pad3d_backward_out_kernelIN3c107complexIfEEEEvN5torch10headeronly6detail27GenericPackedTensorAccessorINS8_14TensorAccessorINS3_8ArrayRefIlEET_Lm4ENS7_16DefaultPtrTraitsElEENS_6detail16IndexBoundsCheckILm5ElEESD_Lm5ESE_lEENS9_INSA_ISC_KSD_Lm4ESE_lEESI_SK_Lm5ESE_lEElllll,"axG",@progbits,_ZN2at6native12_GLOBAL__N_136reflection_pad3d_backward_out_kernelIN3c107complexIfEEEEvN5torch10headeronly6detail27GenericPackedTensorAccessorINS8_14TensorAccessorINS3_8ArrayRefIlEET_Lm4ENS7_16DefaultPtrTraitsElEENS_6detail16IndexBoundsCheckILm5ElEESD_Lm5ESE_lEENS9_INSA_ISC_KSD_Lm4ESE_lEESI_SK_Lm5ESE_lEElllll,comdat
.Lfunc_end71:
	.size	_ZN2at6native12_GLOBAL__N_136reflection_pad3d_backward_out_kernelIN3c107complexIfEEEEvN5torch10headeronly6detail27GenericPackedTensorAccessorINS8_14TensorAccessorINS3_8ArrayRefIlEET_Lm4ENS7_16DefaultPtrTraitsElEENS_6detail16IndexBoundsCheckILm5ElEESD_Lm5ESE_lEENS9_INSA_ISC_KSD_Lm4ESE_lEESI_SK_Lm5ESE_lEElllll, .Lfunc_end71-_ZN2at6native12_GLOBAL__N_136reflection_pad3d_backward_out_kernelIN3c107complexIfEEEEvN5torch10headeronly6detail27GenericPackedTensorAccessorINS8_14TensorAccessorINS3_8ArrayRefIlEET_Lm4ENS7_16DefaultPtrTraitsElEENS_6detail16IndexBoundsCheckILm5ElEESD_Lm5ESE_lEENS9_INSA_ISC_KSD_Lm4ESE_lEESI_SK_Lm5ESE_lEElllll
                                        ; -- End function
	.section	.AMDGPU.csdata,"",@progbits
; Kernel info:
; codeLenInByte = 3776
; NumSgprs: 61
; NumVgprs: 17
; NumAgprs: 0
; TotalNumVgprs: 17
; ScratchSize: 0
; MemoryBound: 0
; FloatMode: 240
; IeeeMode: 1
; LDSByteSize: 0 bytes/workgroup (compile time only)
; SGPRBlocks: 7
; VGPRBlocks: 2
; NumSGPRsForWavesPerEU: 61
; NumVGPRsForWavesPerEU: 17
; AccumOffset: 20
; Occupancy: 8
; WaveLimiterHint : 0
; COMPUTE_PGM_RSRC2:SCRATCH_EN: 0
; COMPUTE_PGM_RSRC2:USER_SGPR: 6
; COMPUTE_PGM_RSRC2:TRAP_HANDLER: 0
; COMPUTE_PGM_RSRC2:TGID_X_EN: 1
; COMPUTE_PGM_RSRC2:TGID_Y_EN: 1
; COMPUTE_PGM_RSRC2:TGID_Z_EN: 1
; COMPUTE_PGM_RSRC2:TIDIG_COMP_CNT: 0
; COMPUTE_PGM_RSRC3_GFX90A:ACCUM_OFFSET: 4
; COMPUTE_PGM_RSRC3_GFX90A:TG_SPLIT: 0
	.section	.text._ZN2at6native12_GLOBAL__N_136reflection_pad3d_backward_out_kernelIN3c104HalfEEEvN5torch10headeronly6detail27GenericPackedTensorAccessorINS7_14TensorAccessorINS3_8ArrayRefIlEET_Lm4ENS6_16DefaultPtrTraitsElEENS_6detail16IndexBoundsCheckILm5ElEESC_Lm5ESD_lEENS8_INS9_ISB_KSC_Lm4ESD_lEESH_SJ_Lm5ESD_lEElllll,"axG",@progbits,_ZN2at6native12_GLOBAL__N_136reflection_pad3d_backward_out_kernelIN3c104HalfEEEvN5torch10headeronly6detail27GenericPackedTensorAccessorINS7_14TensorAccessorINS3_8ArrayRefIlEET_Lm4ENS6_16DefaultPtrTraitsElEENS_6detail16IndexBoundsCheckILm5ElEESC_Lm5ESD_lEENS8_INS9_ISB_KSC_Lm4ESD_lEESH_SJ_Lm5ESD_lEElllll,comdat
	.globl	_ZN2at6native12_GLOBAL__N_136reflection_pad3d_backward_out_kernelIN3c104HalfEEEvN5torch10headeronly6detail27GenericPackedTensorAccessorINS7_14TensorAccessorINS3_8ArrayRefIlEET_Lm4ENS6_16DefaultPtrTraitsElEENS_6detail16IndexBoundsCheckILm5ElEESC_Lm5ESD_lEENS8_INS9_ISB_KSC_Lm4ESD_lEESH_SJ_Lm5ESD_lEElllll ; -- Begin function _ZN2at6native12_GLOBAL__N_136reflection_pad3d_backward_out_kernelIN3c104HalfEEEvN5torch10headeronly6detail27GenericPackedTensorAccessorINS7_14TensorAccessorINS3_8ArrayRefIlEET_Lm4ENS6_16DefaultPtrTraitsElEENS_6detail16IndexBoundsCheckILm5ElEESC_Lm5ESD_lEENS8_INS9_ISB_KSC_Lm4ESD_lEESH_SJ_Lm5ESD_lEElllll
	.p2align	8
	.type	_ZN2at6native12_GLOBAL__N_136reflection_pad3d_backward_out_kernelIN3c104HalfEEEvN5torch10headeronly6detail27GenericPackedTensorAccessorINS7_14TensorAccessorINS3_8ArrayRefIlEET_Lm4ENS6_16DefaultPtrTraitsElEENS_6detail16IndexBoundsCheckILm5ElEESC_Lm5ESD_lEENS8_INS9_ISB_KSC_Lm4ESD_lEESH_SJ_Lm5ESD_lEElllll,@function
_ZN2at6native12_GLOBAL__N_136reflection_pad3d_backward_out_kernelIN3c104HalfEEEvN5torch10headeronly6detail27GenericPackedTensorAccessorINS7_14TensorAccessorINS3_8ArrayRefIlEET_Lm4ENS6_16DefaultPtrTraitsElEENS_6detail16IndexBoundsCheckILm5ElEESC_Lm5ESD_lEENS8_INS9_ISB_KSC_Lm4ESD_lEESH_SJ_Lm5ESD_lEElllll: ; @_ZN2at6native12_GLOBAL__N_136reflection_pad3d_backward_out_kernelIN3c104HalfEEEvN5torch10headeronly6detail27GenericPackedTensorAccessorINS7_14TensorAccessorINS3_8ArrayRefIlEET_Lm4ENS6_16DefaultPtrTraitsElEENS_6detail16IndexBoundsCheckILm5ElEESC_Lm5ESD_lEENS8_INS9_ISB_KSC_Lm4ESD_lEESH_SJ_Lm5ESD_lEElllll
; %bb.0:
	s_load_dword s0, s[4:5], 0xe4
	s_load_dwordx4 s[12:15], s[4:5], 0x70
	s_load_dwordx2 s[10:11], s[4:5], 0x80
	v_mov_b32_e32 v2, 0
	v_mov_b32_e32 v1, v2
	s_waitcnt lgkmcnt(0)
	s_and_b32 s0, s0, 0xffff
	v_mov_b32_e32 v3, s6
	v_mad_u64_u32 v[0:1], s[0:1], s0, v3, v[0:1]
	s_mul_i32 s0, s10, s15
	s_mul_hi_u32 s1, s10, s14
	s_add_i32 s9, s1, s0
	s_mul_i32 s0, s11, s14
	s_mul_i32 s6, s10, s14
	s_add_i32 s9, s9, s0
	s_mul_i32 s0, s6, s13
	s_mul_hi_u32 s1, s6, s12
	s_add_i32 s0, s1, s0
	s_mul_i32 s1, s9, s12
	s_add_i32 s1, s0, s1
	s_mul_i32 s0, s6, s12
	v_cmp_gt_i64_e32 vcc, s[0:1], v[0:1]
	s_and_saveexec_b64 s[0:1], vcc
	s_cbranch_execz .LBB72_19
; %bb.1:
	v_or_b32_e32 v3, s11, v1
	v_cmp_ne_u64_e32 vcc, 0, v[2:3]
                                        ; implicit-def: $vgpr4_vgpr5
	s_and_saveexec_b64 s[0:1], vcc
	s_xor_b64 s[2:3], exec, s[0:1]
	s_cbranch_execz .LBB72_3
; %bb.2:
	s_ashr_i32 s12, s11, 31
	s_add_u32 s0, s10, s12
	s_mov_b32 s13, s12
	s_addc_u32 s1, s11, s12
	s_xor_b64 s[16:17], s[0:1], s[12:13]
	v_cvt_f32_u32_e32 v2, s16
	v_cvt_f32_u32_e32 v3, s17
	s_sub_u32 s0, 0, s16
	s_subb_u32 s1, 0, s17
	v_madmk_f32 v2, v3, 0x4f800000, v2
	v_rcp_f32_e32 v2, v2
	v_mul_f32_e32 v2, 0x5f7ffffc, v2
	v_mul_f32_e32 v3, 0x2f800000, v2
	v_trunc_f32_e32 v3, v3
	v_madmk_f32 v2, v3, 0xcf800000, v2
	v_cvt_u32_f32_e32 v3, v3
	v_cvt_u32_f32_e32 v2, v2
	v_mul_lo_u32 v4, s0, v3
	v_mul_hi_u32 v6, s0, v2
	v_mul_lo_u32 v5, s1, v2
	v_add_u32_e32 v4, v6, v4
	v_mul_lo_u32 v7, s0, v2
	v_add_u32_e32 v4, v4, v5
	v_mul_lo_u32 v6, v2, v4
	v_mul_hi_u32 v8, v2, v7
	v_mul_hi_u32 v5, v2, v4
	v_add_co_u32_e32 v6, vcc, v8, v6
	v_addc_co_u32_e32 v5, vcc, 0, v5, vcc
	v_mul_hi_u32 v9, v3, v7
	v_mul_lo_u32 v7, v3, v7
	v_add_co_u32_e32 v6, vcc, v6, v7
	v_mul_hi_u32 v8, v3, v4
	v_addc_co_u32_e32 v5, vcc, v5, v9, vcc
	v_addc_co_u32_e32 v6, vcc, 0, v8, vcc
	v_mul_lo_u32 v4, v3, v4
	v_add_co_u32_e32 v4, vcc, v5, v4
	v_addc_co_u32_e32 v5, vcc, 0, v6, vcc
	v_add_co_u32_e32 v2, vcc, v2, v4
	v_addc_co_u32_e32 v3, vcc, v3, v5, vcc
	v_mul_lo_u32 v4, s0, v3
	v_mul_hi_u32 v5, s0, v2
	v_add_u32_e32 v4, v5, v4
	v_mul_lo_u32 v5, s1, v2
	v_add_u32_e32 v4, v4, v5
	v_mul_lo_u32 v6, s0, v2
	v_mul_hi_u32 v7, v3, v6
	v_mul_lo_u32 v8, v3, v6
	v_mul_lo_u32 v10, v2, v4
	v_mul_hi_u32 v6, v2, v6
	v_mul_hi_u32 v9, v2, v4
	v_add_co_u32_e32 v6, vcc, v6, v10
	v_addc_co_u32_e32 v9, vcc, 0, v9, vcc
	v_add_co_u32_e32 v6, vcc, v6, v8
	v_mul_hi_u32 v5, v3, v4
	v_addc_co_u32_e32 v6, vcc, v9, v7, vcc
	v_addc_co_u32_e32 v5, vcc, 0, v5, vcc
	v_mul_lo_u32 v4, v3, v4
	v_add_co_u32_e32 v4, vcc, v6, v4
	v_addc_co_u32_e32 v5, vcc, 0, v5, vcc
	v_add_co_u32_e32 v4, vcc, v2, v4
	v_addc_co_u32_e32 v5, vcc, v3, v5, vcc
	v_ashrrev_i32_e32 v6, 31, v1
	v_add_co_u32_e32 v2, vcc, v0, v6
	v_addc_co_u32_e32 v3, vcc, v1, v6, vcc
	v_xor_b32_e32 v8, v2, v6
	v_xor_b32_e32 v7, v3, v6
	v_mad_u64_u32 v[2:3], s[0:1], v8, v5, 0
	v_mul_hi_u32 v9, v8, v4
	v_add_co_u32_e32 v9, vcc, v9, v2
	v_addc_co_u32_e32 v10, vcc, 0, v3, vcc
	v_mad_u64_u32 v[2:3], s[0:1], v7, v5, 0
	v_mad_u64_u32 v[4:5], s[0:1], v7, v4, 0
	v_add_co_u32_e32 v4, vcc, v9, v4
	v_addc_co_u32_e32 v4, vcc, v10, v5, vcc
	v_addc_co_u32_e32 v3, vcc, 0, v3, vcc
	v_add_co_u32_e32 v4, vcc, v4, v2
	v_addc_co_u32_e32 v5, vcc, 0, v3, vcc
	v_mul_lo_u32 v9, s17, v4
	v_mul_lo_u32 v10, s16, v5
	v_mad_u64_u32 v[2:3], s[0:1], s16, v4, 0
	v_add3_u32 v3, v3, v10, v9
	v_sub_u32_e32 v9, v7, v3
	v_mov_b32_e32 v10, s17
	v_sub_co_u32_e32 v2, vcc, v8, v2
	v_subb_co_u32_e64 v8, s[0:1], v9, v10, vcc
	v_subrev_co_u32_e64 v9, s[0:1], s16, v2
	v_subbrev_co_u32_e64 v8, s[0:1], 0, v8, s[0:1]
	v_cmp_le_u32_e64 s[0:1], s17, v8
	v_cndmask_b32_e64 v10, 0, -1, s[0:1]
	v_cmp_le_u32_e64 s[0:1], s16, v9
	v_cndmask_b32_e64 v9, 0, -1, s[0:1]
	v_cmp_eq_u32_e64 s[0:1], s17, v8
	v_cndmask_b32_e64 v8, v10, v9, s[0:1]
	v_add_co_u32_e64 v9, s[0:1], 2, v4
	v_subb_co_u32_e32 v3, vcc, v7, v3, vcc
	v_addc_co_u32_e64 v10, s[0:1], 0, v5, s[0:1]
	v_cmp_le_u32_e32 vcc, s17, v3
	v_add_co_u32_e64 v11, s[0:1], 1, v4
	v_cndmask_b32_e64 v7, 0, -1, vcc
	v_cmp_le_u32_e32 vcc, s16, v2
	v_addc_co_u32_e64 v12, s[0:1], 0, v5, s[0:1]
	v_cndmask_b32_e64 v2, 0, -1, vcc
	v_cmp_eq_u32_e32 vcc, s17, v3
	v_cmp_ne_u32_e64 s[0:1], 0, v8
	v_cndmask_b32_e32 v2, v7, v2, vcc
	v_cndmask_b32_e64 v8, v12, v10, s[0:1]
	v_cmp_ne_u32_e32 vcc, 0, v2
	v_cndmask_b32_e64 v3, v11, v9, s[0:1]
	v_cndmask_b32_e32 v2, v5, v8, vcc
	v_cndmask_b32_e32 v3, v4, v3, vcc
	v_xor_b32_e32 v5, s12, v6
	v_xor_b32_e32 v3, v3, v5
	;; [unrolled: 1-line block ×3, first 2 shown]
	v_sub_co_u32_e32 v4, vcc, v3, v5
	v_subb_co_u32_e32 v5, vcc, v2, v5, vcc
.LBB72_3:
	s_andn2_saveexec_b64 s[0:1], s[2:3]
	s_cbranch_execz .LBB72_5
; %bb.4:
	v_cvt_f32_u32_e32 v2, s10
	s_sub_i32 s2, 0, s10
	v_rcp_iflag_f32_e32 v2, v2
	v_mul_f32_e32 v2, 0x4f7ffffe, v2
	v_cvt_u32_f32_e32 v2, v2
	v_mul_lo_u32 v3, s2, v2
	v_mul_hi_u32 v3, v2, v3
	v_add_u32_e32 v2, v2, v3
	v_mul_hi_u32 v2, v0, v2
	v_mul_lo_u32 v3, v2, s10
	v_sub_u32_e32 v3, v0, v3
	v_add_u32_e32 v4, 1, v2
	v_subrev_u32_e32 v5, s10, v3
	v_cmp_le_u32_e32 vcc, s10, v3
	v_cndmask_b32_e32 v3, v3, v5, vcc
	v_cndmask_b32_e32 v2, v2, v4, vcc
	v_add_u32_e32 v4, 1, v2
	v_cmp_le_u32_e32 vcc, s10, v3
	v_cndmask_b32_e32 v4, v2, v4, vcc
	v_mov_b32_e32 v5, 0
.LBB72_5:
	s_or_b64 exec, exec, s[0:1]
	v_or_b32_e32 v3, s15, v5
	v_mov_b32_e32 v2, 0
	v_cmp_ne_u64_e32 vcc, 0, v[2:3]
                                        ; implicit-def: $vgpr2_vgpr3
	s_and_saveexec_b64 s[0:1], vcc
	s_xor_b64 s[12:13], exec, s[0:1]
	s_cbranch_execz .LBB72_7
; %bb.6:
	s_ashr_i32 s0, s15, 31
	s_add_u32 s2, s14, s0
	s_mov_b32 s1, s0
	s_addc_u32 s3, s15, s0
	s_xor_b64 s[16:17], s[2:3], s[0:1]
	v_cvt_f32_u32_e32 v2, s16
	v_cvt_f32_u32_e32 v3, s17
	s_sub_u32 s0, 0, s16
	s_subb_u32 s1, 0, s17
	v_madmk_f32 v2, v3, 0x4f800000, v2
	v_rcp_f32_e32 v2, v2
	v_mul_f32_e32 v2, 0x5f7ffffc, v2
	v_mul_f32_e32 v3, 0x2f800000, v2
	v_trunc_f32_e32 v3, v3
	v_madmk_f32 v2, v3, 0xcf800000, v2
	v_cvt_u32_f32_e32 v3, v3
	v_cvt_u32_f32_e32 v2, v2
	v_mul_lo_u32 v6, s0, v3
	v_mul_hi_u32 v8, s0, v2
	v_mul_lo_u32 v7, s1, v2
	v_add_u32_e32 v6, v8, v6
	v_mul_lo_u32 v9, s0, v2
	v_add_u32_e32 v6, v6, v7
	v_mul_lo_u32 v8, v2, v6
	v_mul_hi_u32 v10, v2, v9
	v_mul_hi_u32 v7, v2, v6
	v_add_co_u32_e32 v8, vcc, v10, v8
	v_addc_co_u32_e32 v7, vcc, 0, v7, vcc
	v_mul_hi_u32 v11, v3, v9
	v_mul_lo_u32 v9, v3, v9
	v_add_co_u32_e32 v8, vcc, v8, v9
	v_mul_hi_u32 v10, v3, v6
	v_addc_co_u32_e32 v7, vcc, v7, v11, vcc
	v_addc_co_u32_e32 v8, vcc, 0, v10, vcc
	v_mul_lo_u32 v6, v3, v6
	v_add_co_u32_e32 v6, vcc, v7, v6
	v_addc_co_u32_e32 v7, vcc, 0, v8, vcc
	v_add_co_u32_e32 v2, vcc, v2, v6
	v_addc_co_u32_e32 v3, vcc, v3, v7, vcc
	v_mul_lo_u32 v6, s0, v3
	v_mul_hi_u32 v7, s0, v2
	v_add_u32_e32 v6, v7, v6
	v_mul_lo_u32 v7, s1, v2
	v_add_u32_e32 v6, v6, v7
	v_mul_lo_u32 v8, s0, v2
	v_mul_hi_u32 v9, v3, v8
	v_mul_lo_u32 v10, v3, v8
	v_mul_lo_u32 v12, v2, v6
	v_mul_hi_u32 v8, v2, v8
	v_mul_hi_u32 v11, v2, v6
	v_add_co_u32_e32 v8, vcc, v8, v12
	v_addc_co_u32_e32 v11, vcc, 0, v11, vcc
	v_add_co_u32_e32 v8, vcc, v8, v10
	v_mul_hi_u32 v7, v3, v6
	v_addc_co_u32_e32 v8, vcc, v11, v9, vcc
	v_addc_co_u32_e32 v7, vcc, 0, v7, vcc
	v_mul_lo_u32 v6, v3, v6
	v_add_co_u32_e32 v6, vcc, v8, v6
	v_addc_co_u32_e32 v7, vcc, 0, v7, vcc
	v_add_co_u32_e32 v6, vcc, v2, v6
	v_addc_co_u32_e32 v7, vcc, v3, v7, vcc
	v_ashrrev_i32_e32 v8, 31, v5
	v_add_co_u32_e32 v2, vcc, v4, v8
	v_addc_co_u32_e32 v3, vcc, v5, v8, vcc
	v_xor_b32_e32 v10, v2, v8
	v_xor_b32_e32 v9, v3, v8
	v_mad_u64_u32 v[2:3], s[0:1], v10, v7, 0
	v_mul_hi_u32 v11, v10, v6
	v_add_co_u32_e32 v11, vcc, v11, v2
	v_addc_co_u32_e32 v12, vcc, 0, v3, vcc
	v_mad_u64_u32 v[2:3], s[0:1], v9, v7, 0
	v_mad_u64_u32 v[6:7], s[0:1], v9, v6, 0
	v_add_co_u32_e32 v6, vcc, v11, v6
	v_addc_co_u32_e32 v6, vcc, v12, v7, vcc
	v_addc_co_u32_e32 v3, vcc, 0, v3, vcc
	v_add_co_u32_e32 v2, vcc, v6, v2
	v_addc_co_u32_e32 v3, vcc, 0, v3, vcc
	v_mul_lo_u32 v6, s17, v2
	v_mul_lo_u32 v7, s16, v3
	v_mad_u64_u32 v[2:3], s[0:1], s16, v2, 0
	v_add3_u32 v3, v3, v7, v6
	v_sub_u32_e32 v6, v9, v3
	v_mov_b32_e32 v7, s17
	v_sub_co_u32_e32 v2, vcc, v10, v2
	v_subb_co_u32_e64 v6, s[0:1], v6, v7, vcc
	v_subrev_co_u32_e64 v10, s[0:1], s16, v2
	v_subbrev_co_u32_e64 v11, s[2:3], 0, v6, s[0:1]
	v_cmp_le_u32_e64 s[2:3], s17, v11
	v_cndmask_b32_e64 v12, 0, -1, s[2:3]
	v_cmp_le_u32_e64 s[2:3], s16, v10
	v_subb_co_u32_e64 v6, s[0:1], v6, v7, s[0:1]
	v_cndmask_b32_e64 v13, 0, -1, s[2:3]
	v_cmp_eq_u32_e64 s[2:3], s17, v11
	v_subrev_co_u32_e64 v7, s[0:1], s16, v10
	v_subb_co_u32_e32 v3, vcc, v9, v3, vcc
	v_cndmask_b32_e64 v12, v12, v13, s[2:3]
	v_subbrev_co_u32_e64 v6, s[0:1], 0, v6, s[0:1]
	v_cmp_le_u32_e32 vcc, s17, v3
	v_cmp_ne_u32_e64 s[0:1], 0, v12
	v_cndmask_b32_e64 v9, 0, -1, vcc
	v_cmp_le_u32_e32 vcc, s16, v2
	v_cndmask_b32_e64 v6, v11, v6, s[0:1]
	v_cndmask_b32_e64 v11, 0, -1, vcc
	v_cmp_eq_u32_e32 vcc, s17, v3
	v_cndmask_b32_e32 v9, v9, v11, vcc
	v_cmp_ne_u32_e32 vcc, 0, v9
	v_cndmask_b32_e32 v3, v3, v6, vcc
	v_cndmask_b32_e64 v6, v10, v7, s[0:1]
	v_cndmask_b32_e32 v2, v2, v6, vcc
	v_xor_b32_e32 v2, v2, v8
	v_xor_b32_e32 v3, v3, v8
	v_sub_co_u32_e32 v2, vcc, v2, v8
	v_subb_co_u32_e32 v3, vcc, v3, v8, vcc
.LBB72_7:
	s_or_saveexec_b64 s[0:1], s[12:13]
	s_load_dwordx2 s[2:3], s[4:5], 0xa8
	s_load_dwordx8 s[36:43], s[4:5], 0x88
	s_xor_b64 exec, exec, s[0:1]
	s_cbranch_execz .LBB72_9
; %bb.8:
	v_cvt_f32_u32_e32 v2, s14
	s_sub_i32 s12, 0, s14
	v_rcp_iflag_f32_e32 v2, v2
	v_mul_f32_e32 v2, 0x4f7ffffe, v2
	v_cvt_u32_f32_e32 v2, v2
	v_mul_lo_u32 v3, s12, v2
	v_mul_hi_u32 v3, v2, v3
	v_add_u32_e32 v2, v2, v3
	v_mul_hi_u32 v2, v4, v2
	v_mul_lo_u32 v2, v2, s14
	v_sub_u32_e32 v2, v4, v2
	v_subrev_u32_e32 v3, s14, v2
	v_cmp_le_u32_e32 vcc, s14, v2
	v_cndmask_b32_e32 v2, v2, v3, vcc
	v_subrev_u32_e32 v3, s14, v2
	v_cmp_le_u32_e32 vcc, s14, v2
	v_cndmask_b32_e32 v2, v2, v3, vcc
	v_mov_b32_e32 v3, 0
.LBB72_9:
	s_or_b64 exec, exec, s[0:1]
	s_load_dwordx2 s[30:31], s[4:5], 0x58
	s_load_dwordx2 s[28:29], s[4:5], 0x0
	v_or_b32_e32 v7, s9, v1
	v_mov_b32_e32 v6, 0
	v_cmp_ne_u64_e32 vcc, 0, v[6:7]
                                        ; implicit-def: $vgpr6_vgpr7
	s_and_saveexec_b64 s[0:1], vcc
	s_xor_b64 s[12:13], exec, s[0:1]
	s_cbranch_execz .LBB72_11
; %bb.10:
	s_ashr_i32 s14, s9, 31
	s_add_u32 s0, s6, s14
	s_mov_b32 s15, s14
	s_addc_u32 s1, s9, s14
	s_xor_b64 s[16:17], s[0:1], s[14:15]
	v_cvt_f32_u32_e32 v6, s16
	v_cvt_f32_u32_e32 v7, s17
	s_sub_u32 s0, 0, s16
	s_subb_u32 s1, 0, s17
	v_madmk_f32 v6, v7, 0x4f800000, v6
	v_rcp_f32_e32 v6, v6
	v_mul_f32_e32 v6, 0x5f7ffffc, v6
	v_mul_f32_e32 v7, 0x2f800000, v6
	v_trunc_f32_e32 v7, v7
	v_madmk_f32 v6, v7, 0xcf800000, v6
	v_cvt_u32_f32_e32 v7, v7
	v_cvt_u32_f32_e32 v6, v6
	v_mul_lo_u32 v8, s0, v7
	v_mul_hi_u32 v10, s0, v6
	v_mul_lo_u32 v9, s1, v6
	v_add_u32_e32 v8, v10, v8
	v_mul_lo_u32 v11, s0, v6
	v_add_u32_e32 v8, v8, v9
	v_mul_lo_u32 v10, v6, v8
	v_mul_hi_u32 v12, v6, v11
	v_mul_hi_u32 v9, v6, v8
	v_add_co_u32_e32 v10, vcc, v12, v10
	v_addc_co_u32_e32 v9, vcc, 0, v9, vcc
	v_mul_hi_u32 v13, v7, v11
	v_mul_lo_u32 v11, v7, v11
	v_add_co_u32_e32 v10, vcc, v10, v11
	v_mul_hi_u32 v12, v7, v8
	v_addc_co_u32_e32 v9, vcc, v9, v13, vcc
	v_addc_co_u32_e32 v10, vcc, 0, v12, vcc
	v_mul_lo_u32 v8, v7, v8
	v_add_co_u32_e32 v8, vcc, v9, v8
	v_addc_co_u32_e32 v9, vcc, 0, v10, vcc
	v_add_co_u32_e32 v6, vcc, v6, v8
	v_addc_co_u32_e32 v7, vcc, v7, v9, vcc
	v_mul_lo_u32 v8, s0, v7
	v_mul_hi_u32 v9, s0, v6
	v_add_u32_e32 v8, v9, v8
	v_mul_lo_u32 v9, s1, v6
	v_add_u32_e32 v8, v8, v9
	v_mul_lo_u32 v10, s0, v6
	v_mul_hi_u32 v11, v7, v10
	v_mul_lo_u32 v12, v7, v10
	v_mul_lo_u32 v14, v6, v8
	v_mul_hi_u32 v10, v6, v10
	v_mul_hi_u32 v13, v6, v8
	v_add_co_u32_e32 v10, vcc, v10, v14
	v_addc_co_u32_e32 v13, vcc, 0, v13, vcc
	v_add_co_u32_e32 v10, vcc, v10, v12
	v_mul_hi_u32 v9, v7, v8
	v_addc_co_u32_e32 v10, vcc, v13, v11, vcc
	v_addc_co_u32_e32 v9, vcc, 0, v9, vcc
	v_mul_lo_u32 v8, v7, v8
	v_add_co_u32_e32 v8, vcc, v10, v8
	v_addc_co_u32_e32 v9, vcc, 0, v9, vcc
	v_add_co_u32_e32 v8, vcc, v6, v8
	v_addc_co_u32_e32 v9, vcc, v7, v9, vcc
	v_ashrrev_i32_e32 v10, 31, v1
	v_add_co_u32_e32 v6, vcc, v0, v10
	v_addc_co_u32_e32 v7, vcc, v1, v10, vcc
	v_xor_b32_e32 v12, v6, v10
	v_xor_b32_e32 v11, v7, v10
	v_mad_u64_u32 v[6:7], s[0:1], v12, v9, 0
	v_mul_hi_u32 v13, v12, v8
	v_add_co_u32_e32 v13, vcc, v13, v6
	v_addc_co_u32_e32 v14, vcc, 0, v7, vcc
	v_mad_u64_u32 v[6:7], s[0:1], v11, v9, 0
	v_mad_u64_u32 v[8:9], s[0:1], v11, v8, 0
	v_add_co_u32_e32 v8, vcc, v13, v8
	v_addc_co_u32_e32 v8, vcc, v14, v9, vcc
	v_addc_co_u32_e32 v7, vcc, 0, v7, vcc
	v_add_co_u32_e32 v8, vcc, v8, v6
	v_addc_co_u32_e32 v9, vcc, 0, v7, vcc
	v_mul_lo_u32 v13, s17, v8
	v_mul_lo_u32 v14, s16, v9
	v_mad_u64_u32 v[6:7], s[0:1], s16, v8, 0
	v_add3_u32 v7, v7, v14, v13
	v_sub_u32_e32 v13, v11, v7
	v_mov_b32_e32 v14, s17
	v_sub_co_u32_e32 v6, vcc, v12, v6
	v_subb_co_u32_e64 v12, s[0:1], v13, v14, vcc
	v_subrev_co_u32_e64 v13, s[0:1], s16, v6
	v_subbrev_co_u32_e64 v12, s[0:1], 0, v12, s[0:1]
	v_cmp_le_u32_e64 s[0:1], s17, v12
	v_cndmask_b32_e64 v14, 0, -1, s[0:1]
	v_cmp_le_u32_e64 s[0:1], s16, v13
	v_cndmask_b32_e64 v13, 0, -1, s[0:1]
	v_cmp_eq_u32_e64 s[0:1], s17, v12
	v_cndmask_b32_e64 v12, v14, v13, s[0:1]
	v_add_co_u32_e64 v13, s[0:1], 2, v8
	v_subb_co_u32_e32 v7, vcc, v11, v7, vcc
	v_addc_co_u32_e64 v14, s[0:1], 0, v9, s[0:1]
	v_cmp_le_u32_e32 vcc, s17, v7
	v_add_co_u32_e64 v15, s[0:1], 1, v8
	v_cndmask_b32_e64 v11, 0, -1, vcc
	v_cmp_le_u32_e32 vcc, s16, v6
	v_addc_co_u32_e64 v16, s[0:1], 0, v9, s[0:1]
	v_cndmask_b32_e64 v6, 0, -1, vcc
	v_cmp_eq_u32_e32 vcc, s17, v7
	v_cmp_ne_u32_e64 s[0:1], 0, v12
	v_cndmask_b32_e32 v6, v11, v6, vcc
	v_cndmask_b32_e64 v12, v16, v14, s[0:1]
	v_cmp_ne_u32_e32 vcc, 0, v6
	v_cndmask_b32_e64 v7, v15, v13, s[0:1]
	v_cndmask_b32_e32 v6, v9, v12, vcc
	v_cndmask_b32_e32 v7, v8, v7, vcc
	v_xor_b32_e32 v8, s14, v10
	v_xor_b32_e32 v9, v6, v8
	v_xor_b32_e32 v6, v7, v8
	v_sub_co_u32_e32 v6, vcc, v6, v8
	v_subb_co_u32_e32 v7, vcc, v9, v8, vcc
.LBB72_11:
	s_or_saveexec_b64 s[0:1], s[12:13]
	s_load_dwordx16 s[12:27], s[4:5], 0x18
	s_xor_b64 exec, exec, s[0:1]
	s_cbranch_execz .LBB72_13
; %bb.12:
	v_cvt_f32_u32_e32 v6, s6
	s_sub_i32 s9, 0, s6
	v_rcp_iflag_f32_e32 v6, v6
	v_mul_f32_e32 v6, 0x4f7ffffe, v6
	v_cvt_u32_f32_e32 v6, v6
	v_mul_lo_u32 v7, s9, v6
	v_mul_hi_u32 v7, v6, v7
	v_add_u32_e32 v6, v6, v7
	v_mul_hi_u32 v6, v0, v6
	v_mul_lo_u32 v7, v6, s6
	v_sub_u32_e32 v7, v0, v7
	v_add_u32_e32 v8, 1, v6
	v_subrev_u32_e32 v9, s6, v7
	v_cmp_le_u32_e32 vcc, s6, v7
	v_cndmask_b32_e32 v7, v7, v9, vcc
	v_cndmask_b32_e32 v6, v6, v8, vcc
	v_add_u32_e32 v8, 1, v6
	v_cmp_le_u32_e32 vcc, s6, v7
	v_cndmask_b32_e32 v6, v6, v8, vcc
	v_mov_b32_e32 v7, 0
.LBB72_13:
	s_or_b64 exec, exec, s[0:1]
	s_load_dwordx8 s[44:51], s[4:5], 0xb0
	v_mul_lo_u32 v8, v5, s10
	v_mul_lo_u32 v9, v4, s11
	v_mad_u64_u32 v[4:5], s[0:1], v4, s10, 0
	s_load_dwordx2 s[0:1], s[4:5], 0xd0
	s_waitcnt lgkmcnt(0)
	s_sub_u32 s4, 0, s44
	s_subb_u32 s5, 0, s45
	s_sub_u32 s10, 0, s46
	s_subb_u32 s11, 0, s47
	;; [unrolled: 2-line block ×3, first 2 shown]
	v_cmp_gt_i64_e64 s[52:53], s[4:5], 0
	s_and_b64 s[52:53], s[52:53], exec
	s_cselect_b32 s6, s5, 0
	s_cselect_b32 s9, s4, 0
	v_cmp_gt_i64_e64 s[4:5], s[44:45], 0
	s_and_b64 s[4:5], s[4:5], exec
	v_cmp_gt_i64_e64 s[4:5], s[10:11], 0
	s_cselect_b32 s53, s45, 0
	s_cselect_b32 s52, s44, 0
	s_and_b64 s[4:5], s[4:5], exec
	v_add3_u32 v5, v5, v9, v8
	v_sub_co_u32_e32 v4, vcc, v0, v4
	v_cmp_gt_i64_e64 s[4:5], s[46:47], 0
	v_subb_co_u32_e32 v5, vcc, v1, v5, vcc
	s_cselect_b32 s33, s11, 0
	s_cselect_b32 s54, s10, 0
	s_and_b64 s[4:5], s[4:5], exec
	v_cmp_gt_i64_e64 s[4:5], s[34:35], 0
	v_mov_b32_e32 v1, s45
	v_subrev_co_u32_e32 v0, vcc, s44, v4
	s_cselect_b32 s11, s47, 0
	s_cselect_b32 s10, s46, 0
	s_and_b64 s[4:5], s[4:5], exec
	v_subb_co_u32_e32 v1, vcc, v5, v1, vcc
	v_cmp_gt_i64_e64 s[4:5], s[48:49], 0
	v_ashrrev_i32_e32 v8, 31, v1
	s_cselect_b32 s55, s35, 0
	s_cselect_b32 s56, s34, 0
	s_and_b64 s[4:5], s[4:5], exec
	v_xor_b32_e32 v0, v0, v8
	s_cselect_b32 s5, s49, 0
	s_cselect_b32 s4, s48, 0
	v_xor_b32_e32 v1, v1, v8
	v_sub_co_u32_e32 v9, vcc, v0, v8
	s_add_u32 s34, s16, s44
	v_subb_co_u32_e32 v8, vcc, v1, v8, vcc
	s_addc_u32 s35, s17, s45
	v_mov_b32_e32 v1, s35
	v_subrev_co_u32_e32 v0, vcc, s34, v4
	v_subb_co_u32_e32 v1, vcc, v5, v1, vcc
	v_add_co_u32_e32 v0, vcc, 1, v0
	v_addc_co_u32_e32 v1, vcc, 0, v1, vcc
	s_lshl_b64 s[34:35], s[44:45], 1
	s_not_b64 s[44:45], s[52:53]
	v_ashrrev_i32_e32 v10, 31, v1
	s_add_u32 s34, s34, s44
	v_xor_b32_e32 v0, v0, v10
	s_addc_u32 s35, s35, s45
	v_xor_b32_e32 v1, v1, v10
	v_sub_co_u32_e32 v0, vcc, v0, v10
	s_add_u32 s9, s34, s9
	v_subb_co_u32_e32 v1, vcc, v1, v10, vcc
	s_addc_u32 s6, s35, s6
	s_add_u32 s9, s9, s16
	v_add_co_u32_e32 v0, vcc, v4, v0
	s_addc_u32 s6, s6, s17
	v_addc_co_u32_e32 v1, vcc, v5, v1, vcc
	v_mov_b32_e32 v10, s6
	v_sub_co_u32_e32 v0, vcc, s9, v0
	v_subb_co_u32_e32 v1, vcc, v10, v1, vcc
	v_add_co_u32_e32 v9, vcc, v0, v9
	v_addc_co_u32_e32 v8, vcc, v1, v8, vcc
	v_mov_b32_e32 v0, s47
	v_subrev_co_u32_e32 v1, vcc, s46, v2
	v_subb_co_u32_e32 v0, vcc, v3, v0, vcc
	v_ashrrev_i32_e32 v10, 31, v0
	v_xor_b32_e32 v1, v1, v10
	v_xor_b32_e32 v0, v0, v10
	v_sub_co_u32_e32 v1, vcc, v1, v10
	s_add_u32 s6, s14, s46
	v_subb_co_u32_e32 v0, vcc, v0, v10, vcc
	s_addc_u32 s9, s15, s47
	v_mov_b32_e32 v10, s9
	v_subrev_co_u32_e32 v11, vcc, s6, v2
	v_subb_co_u32_e32 v10, vcc, v3, v10, vcc
	v_add_co_u32_e32 v11, vcc, 1, v11
	v_addc_co_u32_e32 v10, vcc, 0, v10, vcc
	s_lshl_b64 s[16:17], s[46:47], 1
	s_not_b64 s[10:11], s[10:11]
	v_ashrrev_i32_e32 v12, 31, v10
	s_add_u32 s6, s16, s10
	v_xor_b32_e32 v11, v11, v12
	s_addc_u32 s9, s17, s11
	v_xor_b32_e32 v10, v10, v12
	v_sub_co_u32_e32 v11, vcc, v11, v12
	s_add_u32 s6, s6, s54
	v_subb_co_u32_e32 v10, vcc, v10, v12, vcc
	s_addc_u32 s9, s9, s33
	s_add_u32 s6, s6, s14
	v_add_co_u32_e32 v11, vcc, v2, v11
	s_addc_u32 s9, s9, s15
	v_addc_co_u32_e32 v10, vcc, v3, v10, vcc
	v_mov_b32_e32 v12, s9
	v_sub_co_u32_e32 v11, vcc, s6, v11
	v_subb_co_u32_e32 v10, vcc, v12, v10, vcc
	v_add_co_u32_e32 v11, vcc, v11, v1
	v_addc_co_u32_e32 v10, vcc, v10, v0, vcc
	v_mov_b32_e32 v0, s49
	v_subrev_co_u32_e32 v1, vcc, s48, v6
	v_subb_co_u32_e32 v0, vcc, v7, v0, vcc
	v_ashrrev_i32_e32 v12, 31, v0
	v_xor_b32_e32 v1, v1, v12
	v_xor_b32_e32 v0, v0, v12
	v_sub_co_u32_e32 v1, vcc, v1, v12
	s_add_u32 s6, s12, s48
	v_subb_co_u32_e32 v0, vcc, v0, v12, vcc
	s_addc_u32 s9, s13, s49
	v_mov_b32_e32 v12, s9
	v_subrev_co_u32_e32 v13, vcc, s6, v6
	v_subb_co_u32_e32 v12, vcc, v7, v12, vcc
	v_add_co_u32_e32 v13, vcc, 1, v13
	v_addc_co_u32_e32 v12, vcc, 0, v12, vcc
	s_lshl_b64 s[10:11], s[48:49], 1
	s_not_b64 s[4:5], s[4:5]
	v_ashrrev_i32_e32 v14, 31, v12
	s_add_u32 s4, s10, s4
	v_xor_b32_e32 v13, v13, v14
	s_addc_u32 s5, s11, s5
	v_xor_b32_e32 v12, v12, v14
	v_sub_co_u32_e32 v13, vcc, v13, v14
	s_add_u32 s4, s4, s56
	v_subb_co_u32_e32 v12, vcc, v12, v14, vcc
	s_addc_u32 s5, s5, s55
	s_add_u32 s4, s4, s12
	v_add_co_u32_e32 v13, vcc, v6, v13
	s_addc_u32 s5, s5, s13
	v_addc_co_u32_e32 v12, vcc, v7, v12, vcc
	v_sub_co_u32_e32 v13, vcc, s4, v13
	s_add_u32 s4, s7, s50
	v_mov_b32_e32 v14, s5
	s_addc_u32 s5, 0, s51
	s_add_u32 s6, s8, s0
	s_addc_u32 s7, 0, s1
	s_mul_i32 s0, s36, s7
	s_mul_hi_u32 s1, s36, s6
	s_add_i32 s0, s1, s0
	s_mul_i32 s1, s37, s6
	s_add_i32 s1, s0, s1
	s_mul_i32 s0, s36, s6
	s_lshl_b64 s[0:1], s[0:1], 1
	s_add_u32 s8, s30, s0
	s_addc_u32 s9, s31, s1
	s_mul_i32 s0, s38, s5
	s_mul_hi_u32 s1, s38, s4
	s_add_i32 s0, s1, s0
	s_mul_i32 s1, s39, s4
	s_add_i32 s1, s0, s1
	s_mul_i32 s0, s38, s4
	v_subb_co_u32_e32 v12, vcc, v14, v12, vcc
	s_lshl_b64 s[0:1], s[0:1], 1
	v_add_co_u32_e32 v13, vcc, v13, v1
	s_add_u32 s8, s8, s0
	v_addc_co_u32_e32 v12, vcc, v12, v0, vcc
	s_addc_u32 s9, s9, s1
	v_mul_lo_u32 v7, v7, s40
	v_mul_lo_u32 v14, v6, s41
	v_mad_u64_u32 v[0:1], s[0:1], v6, s40, 0
	v_add3_u32 v1, v1, v14, v7
	v_lshlrev_b64 v[0:1], 1, v[0:1]
	v_mov_b32_e32 v6, s9
	v_add_co_u32_e32 v7, vcc, s8, v0
	v_addc_co_u32_e32 v6, vcc, v6, v1, vcc
	v_mul_lo_u32 v3, v3, s42
	v_mul_lo_u32 v14, v2, s43
	v_mad_u64_u32 v[0:1], s[0:1], v2, s42, 0
	v_add3_u32 v1, v1, v14, v3
	v_lshlrev_b64 v[0:1], 1, v[0:1]
	v_add_co_u32_e32 v2, vcc, v7, v0
	v_addc_co_u32_e32 v3, vcc, v6, v1, vcc
	v_mad_u64_u32 v[0:1], s[0:1], v4, s2, 0
	s_mul_i32 s0, s18, s7
	s_mul_hi_u32 s1, s18, s6
	s_add_i32 s0, s1, s0
	s_mul_i32 s1, s19, s6
	s_add_i32 s1, s0, s1
	s_mul_i32 s0, s18, s6
	s_lshl_b64 s[0:1], s[0:1], 1
	v_mul_lo_u32 v5, v5, s2
	s_add_u32 s2, s28, s0
	v_mul_lo_u32 v6, v4, s3
	s_addc_u32 s3, s29, s1
	s_mul_i32 s0, s20, s5
	s_mul_hi_u32 s1, s20, s4
	v_add3_u32 v1, v1, v6, v5
	s_add_i32 s0, s1, s0
	s_mul_i32 s1, s21, s4
	v_lshlrev_b64 v[0:1], 1, v[0:1]
	s_add_i32 s1, s0, s1
	s_mul_i32 s0, s20, s4
	v_add_co_u32_e32 v0, vcc, v2, v0
	s_lshl_b64 s[0:1], s[0:1], 1
	v_addc_co_u32_e32 v1, vcc, v3, v1, vcc
	s_add_u32 s2, s2, s0
	global_load_ushort v4, v[0:1], off
	s_addc_u32 s3, s3, s1
	v_mul_lo_u32 v2, v12, s22
	v_mul_lo_u32 v3, v13, s23
	v_mad_u64_u32 v[0:1], s[0:1], v13, s22, 0
	v_add3_u32 v1, v1, v3, v2
	v_lshlrev_b64 v[0:1], 1, v[0:1]
	v_mov_b32_e32 v2, s3
	v_add_co_u32_e32 v3, vcc, s2, v0
	v_addc_co_u32_e32 v2, vcc, v2, v1, vcc
	v_mul_lo_u32 v5, v10, s24
	v_mul_lo_u32 v6, v11, s25
	v_mad_u64_u32 v[0:1], s[0:1], v11, s24, 0
	v_add3_u32 v1, v1, v6, v5
	v_lshlrev_b64 v[0:1], 1, v[0:1]
	v_add_co_u32_e32 v3, vcc, v3, v0
	v_addc_co_u32_e32 v2, vcc, v2, v1, vcc
	v_mul_lo_u32 v5, v8, s26
	v_mul_lo_u32 v6, v9, s27
	v_mad_u64_u32 v[0:1], s[0:1], v9, s26, 0
	v_add3_u32 v1, v1, v6, v5
	v_lshlrev_b64 v[0:1], 1, v[0:1]
	v_add_co_u32_e32 v5, vcc, v3, v0
	v_addc_co_u32_e32 v1, vcc, v2, v1, vcc
	v_and_b32_e32 v0, -3, v5
	global_load_dword v3, v[0:1], off
	v_and_b32_e32 v6, 2, v5
	v_mov_b32_e32 v7, 0
	s_mov_b64 s[4:5], 0
	v_cmp_eq_u64_e32 vcc, 0, v[6:7]
	v_cmp_ne_u32_e64 s[0:1], 0, v6
	s_mov_b32 s6, 0xffff0000
	s_branch .LBB72_15
.LBB72_14:                              ;   in Loop: Header=BB72_15 Depth=1
	s_or_b64 exec, exec, s[2:3]
	global_atomic_cmpswap v2, v[0:1], v[2:3], off glc
	s_waitcnt vmcnt(0)
	v_cmp_eq_u32_e64 s[2:3], v3, v2
	s_or_b64 s[4:5], s[2:3], s[4:5]
	v_mov_b32_e32 v3, v2
	s_andn2_b64 exec, exec, s[4:5]
	s_cbranch_execz .LBB72_19
.LBB72_15:                              ; =>This Inner Loop Header: Depth=1
	s_waitcnt vmcnt(0)
	v_lshrrev_b32_e32 v2, 16, v3
	v_cndmask_b32_e32 v2, v2, v3, vcc
	v_add_f16_e32 v5, v4, v2
	s_and_saveexec_b64 s[2:3], s[0:1]
	s_xor_b64 s[2:3], exec, s[2:3]
; %bb.16:                               ;   in Loop: Header=BB72_15 Depth=1
	v_and_b32_e32 v2, 0xffff, v3
	v_lshl_or_b32 v2, v5, 16, v2
                                        ; implicit-def: $vgpr5
; %bb.17:                               ;   in Loop: Header=BB72_15 Depth=1
	s_andn2_saveexec_b64 s[2:3], s[2:3]
	s_cbranch_execz .LBB72_14
; %bb.18:                               ;   in Loop: Header=BB72_15 Depth=1
	v_and_or_b32 v2, v3, s6, v5
	s_branch .LBB72_14
.LBB72_19:
	s_endpgm
	.section	.rodata,"a",@progbits
	.p2align	6, 0x0
	.amdhsa_kernel _ZN2at6native12_GLOBAL__N_136reflection_pad3d_backward_out_kernelIN3c104HalfEEEvN5torch10headeronly6detail27GenericPackedTensorAccessorINS7_14TensorAccessorINS3_8ArrayRefIlEET_Lm4ENS6_16DefaultPtrTraitsElEENS_6detail16IndexBoundsCheckILm5ElEESC_Lm5ESD_lEENS8_INS9_ISB_KSC_Lm4ESD_lEESH_SJ_Lm5ESD_lEElllll
		.amdhsa_group_segment_fixed_size 0
		.amdhsa_private_segment_fixed_size 0
		.amdhsa_kernarg_size 472
		.amdhsa_user_sgpr_count 6
		.amdhsa_user_sgpr_private_segment_buffer 1
		.amdhsa_user_sgpr_dispatch_ptr 0
		.amdhsa_user_sgpr_queue_ptr 0
		.amdhsa_user_sgpr_kernarg_segment_ptr 1
		.amdhsa_user_sgpr_dispatch_id 0
		.amdhsa_user_sgpr_flat_scratch_init 0
		.amdhsa_user_sgpr_kernarg_preload_length 0
		.amdhsa_user_sgpr_kernarg_preload_offset 0
		.amdhsa_user_sgpr_private_segment_size 0
		.amdhsa_uses_dynamic_stack 0
		.amdhsa_system_sgpr_private_segment_wavefront_offset 0
		.amdhsa_system_sgpr_workgroup_id_x 1
		.amdhsa_system_sgpr_workgroup_id_y 1
		.amdhsa_system_sgpr_workgroup_id_z 1
		.amdhsa_system_sgpr_workgroup_info 0
		.amdhsa_system_vgpr_workitem_id 0
		.amdhsa_next_free_vgpr 17
		.amdhsa_next_free_sgpr 57
		.amdhsa_accum_offset 20
		.amdhsa_reserve_vcc 1
		.amdhsa_reserve_flat_scratch 0
		.amdhsa_float_round_mode_32 0
		.amdhsa_float_round_mode_16_64 0
		.amdhsa_float_denorm_mode_32 3
		.amdhsa_float_denorm_mode_16_64 3
		.amdhsa_dx10_clamp 1
		.amdhsa_ieee_mode 1
		.amdhsa_fp16_overflow 0
		.amdhsa_tg_split 0
		.amdhsa_exception_fp_ieee_invalid_op 0
		.amdhsa_exception_fp_denorm_src 0
		.amdhsa_exception_fp_ieee_div_zero 0
		.amdhsa_exception_fp_ieee_overflow 0
		.amdhsa_exception_fp_ieee_underflow 0
		.amdhsa_exception_fp_ieee_inexact 0
		.amdhsa_exception_int_div_zero 0
	.end_amdhsa_kernel
	.section	.text._ZN2at6native12_GLOBAL__N_136reflection_pad3d_backward_out_kernelIN3c104HalfEEEvN5torch10headeronly6detail27GenericPackedTensorAccessorINS7_14TensorAccessorINS3_8ArrayRefIlEET_Lm4ENS6_16DefaultPtrTraitsElEENS_6detail16IndexBoundsCheckILm5ElEESC_Lm5ESD_lEENS8_INS9_ISB_KSC_Lm4ESD_lEESH_SJ_Lm5ESD_lEElllll,"axG",@progbits,_ZN2at6native12_GLOBAL__N_136reflection_pad3d_backward_out_kernelIN3c104HalfEEEvN5torch10headeronly6detail27GenericPackedTensorAccessorINS7_14TensorAccessorINS3_8ArrayRefIlEET_Lm4ENS6_16DefaultPtrTraitsElEENS_6detail16IndexBoundsCheckILm5ElEESC_Lm5ESD_lEENS8_INS9_ISB_KSC_Lm4ESD_lEESH_SJ_Lm5ESD_lEElllll,comdat
.Lfunc_end72:
	.size	_ZN2at6native12_GLOBAL__N_136reflection_pad3d_backward_out_kernelIN3c104HalfEEEvN5torch10headeronly6detail27GenericPackedTensorAccessorINS7_14TensorAccessorINS3_8ArrayRefIlEET_Lm4ENS6_16DefaultPtrTraitsElEENS_6detail16IndexBoundsCheckILm5ElEESC_Lm5ESD_lEENS8_INS9_ISB_KSC_Lm4ESD_lEESH_SJ_Lm5ESD_lEElllll, .Lfunc_end72-_ZN2at6native12_GLOBAL__N_136reflection_pad3d_backward_out_kernelIN3c104HalfEEEvN5torch10headeronly6detail27GenericPackedTensorAccessorINS7_14TensorAccessorINS3_8ArrayRefIlEET_Lm4ENS6_16DefaultPtrTraitsElEENS_6detail16IndexBoundsCheckILm5ElEESC_Lm5ESD_lEENS8_INS9_ISB_KSC_Lm4ESD_lEESH_SJ_Lm5ESD_lEElllll
                                        ; -- End function
	.section	.AMDGPU.csdata,"",@progbits
; Kernel info:
; codeLenInByte = 3816
; NumSgprs: 61
; NumVgprs: 17
; NumAgprs: 0
; TotalNumVgprs: 17
; ScratchSize: 0
; MemoryBound: 0
; FloatMode: 240
; IeeeMode: 1
; LDSByteSize: 0 bytes/workgroup (compile time only)
; SGPRBlocks: 7
; VGPRBlocks: 2
; NumSGPRsForWavesPerEU: 61
; NumVGPRsForWavesPerEU: 17
; AccumOffset: 20
; Occupancy: 8
; WaveLimiterHint : 0
; COMPUTE_PGM_RSRC2:SCRATCH_EN: 0
; COMPUTE_PGM_RSRC2:USER_SGPR: 6
; COMPUTE_PGM_RSRC2:TRAP_HANDLER: 0
; COMPUTE_PGM_RSRC2:TGID_X_EN: 1
; COMPUTE_PGM_RSRC2:TGID_Y_EN: 1
; COMPUTE_PGM_RSRC2:TGID_Z_EN: 1
; COMPUTE_PGM_RSRC2:TIDIG_COMP_CNT: 0
; COMPUTE_PGM_RSRC3_GFX90A:ACCUM_OFFSET: 4
; COMPUTE_PGM_RSRC3_GFX90A:TG_SPLIT: 0
	.section	.text._ZN2at6native12_GLOBAL__N_136reflection_pad3d_backward_out_kernelIN3c108BFloat16EEEvN5torch10headeronly6detail27GenericPackedTensorAccessorINS7_14TensorAccessorINS3_8ArrayRefIlEET_Lm4ENS6_16DefaultPtrTraitsElEENS_6detail16IndexBoundsCheckILm5ElEESC_Lm5ESD_lEENS8_INS9_ISB_KSC_Lm4ESD_lEESH_SJ_Lm5ESD_lEElllll,"axG",@progbits,_ZN2at6native12_GLOBAL__N_136reflection_pad3d_backward_out_kernelIN3c108BFloat16EEEvN5torch10headeronly6detail27GenericPackedTensorAccessorINS7_14TensorAccessorINS3_8ArrayRefIlEET_Lm4ENS6_16DefaultPtrTraitsElEENS_6detail16IndexBoundsCheckILm5ElEESC_Lm5ESD_lEENS8_INS9_ISB_KSC_Lm4ESD_lEESH_SJ_Lm5ESD_lEElllll,comdat
	.globl	_ZN2at6native12_GLOBAL__N_136reflection_pad3d_backward_out_kernelIN3c108BFloat16EEEvN5torch10headeronly6detail27GenericPackedTensorAccessorINS7_14TensorAccessorINS3_8ArrayRefIlEET_Lm4ENS6_16DefaultPtrTraitsElEENS_6detail16IndexBoundsCheckILm5ElEESC_Lm5ESD_lEENS8_INS9_ISB_KSC_Lm4ESD_lEESH_SJ_Lm5ESD_lEElllll ; -- Begin function _ZN2at6native12_GLOBAL__N_136reflection_pad3d_backward_out_kernelIN3c108BFloat16EEEvN5torch10headeronly6detail27GenericPackedTensorAccessorINS7_14TensorAccessorINS3_8ArrayRefIlEET_Lm4ENS6_16DefaultPtrTraitsElEENS_6detail16IndexBoundsCheckILm5ElEESC_Lm5ESD_lEENS8_INS9_ISB_KSC_Lm4ESD_lEESH_SJ_Lm5ESD_lEElllll
	.p2align	8
	.type	_ZN2at6native12_GLOBAL__N_136reflection_pad3d_backward_out_kernelIN3c108BFloat16EEEvN5torch10headeronly6detail27GenericPackedTensorAccessorINS7_14TensorAccessorINS3_8ArrayRefIlEET_Lm4ENS6_16DefaultPtrTraitsElEENS_6detail16IndexBoundsCheckILm5ElEESC_Lm5ESD_lEENS8_INS9_ISB_KSC_Lm4ESD_lEESH_SJ_Lm5ESD_lEElllll,@function
_ZN2at6native12_GLOBAL__N_136reflection_pad3d_backward_out_kernelIN3c108BFloat16EEEvN5torch10headeronly6detail27GenericPackedTensorAccessorINS7_14TensorAccessorINS3_8ArrayRefIlEET_Lm4ENS6_16DefaultPtrTraitsElEENS_6detail16IndexBoundsCheckILm5ElEESC_Lm5ESD_lEENS8_INS9_ISB_KSC_Lm4ESD_lEESH_SJ_Lm5ESD_lEElllll: ; @_ZN2at6native12_GLOBAL__N_136reflection_pad3d_backward_out_kernelIN3c108BFloat16EEEvN5torch10headeronly6detail27GenericPackedTensorAccessorINS7_14TensorAccessorINS3_8ArrayRefIlEET_Lm4ENS6_16DefaultPtrTraitsElEENS_6detail16IndexBoundsCheckILm5ElEESC_Lm5ESD_lEENS8_INS9_ISB_KSC_Lm4ESD_lEESH_SJ_Lm5ESD_lEElllll
; %bb.0:
	s_load_dword s0, s[4:5], 0xe4
	s_load_dwordx4 s[12:15], s[4:5], 0x70
	s_load_dwordx2 s[10:11], s[4:5], 0x80
	v_mov_b32_e32 v2, 0
	v_mov_b32_e32 v1, v2
	s_waitcnt lgkmcnt(0)
	s_and_b32 s0, s0, 0xffff
	v_mov_b32_e32 v3, s6
	v_mad_u64_u32 v[0:1], s[0:1], s0, v3, v[0:1]
	s_mul_i32 s0, s10, s15
	s_mul_hi_u32 s1, s10, s14
	s_add_i32 s9, s1, s0
	s_mul_i32 s0, s11, s14
	s_mul_i32 s6, s10, s14
	s_add_i32 s9, s9, s0
	s_mul_i32 s0, s6, s13
	s_mul_hi_u32 s1, s6, s12
	s_add_i32 s0, s1, s0
	s_mul_i32 s1, s9, s12
	s_add_i32 s1, s0, s1
	s_mul_i32 s0, s6, s12
	v_cmp_gt_i64_e32 vcc, s[0:1], v[0:1]
	s_and_saveexec_b64 s[0:1], vcc
	s_cbranch_execz .LBB73_19
; %bb.1:
	v_or_b32_e32 v3, s11, v1
	v_cmp_ne_u64_e32 vcc, 0, v[2:3]
                                        ; implicit-def: $vgpr4_vgpr5
	s_and_saveexec_b64 s[0:1], vcc
	s_xor_b64 s[2:3], exec, s[0:1]
	s_cbranch_execz .LBB73_3
; %bb.2:
	s_ashr_i32 s12, s11, 31
	s_add_u32 s0, s10, s12
	s_mov_b32 s13, s12
	s_addc_u32 s1, s11, s12
	s_xor_b64 s[16:17], s[0:1], s[12:13]
	v_cvt_f32_u32_e32 v2, s16
	v_cvt_f32_u32_e32 v3, s17
	s_sub_u32 s0, 0, s16
	s_subb_u32 s1, 0, s17
	v_madmk_f32 v2, v3, 0x4f800000, v2
	v_rcp_f32_e32 v2, v2
	v_mul_f32_e32 v2, 0x5f7ffffc, v2
	v_mul_f32_e32 v3, 0x2f800000, v2
	v_trunc_f32_e32 v3, v3
	v_madmk_f32 v2, v3, 0xcf800000, v2
	v_cvt_u32_f32_e32 v3, v3
	v_cvt_u32_f32_e32 v2, v2
	v_mul_lo_u32 v4, s0, v3
	v_mul_hi_u32 v6, s0, v2
	v_mul_lo_u32 v5, s1, v2
	v_add_u32_e32 v4, v6, v4
	v_mul_lo_u32 v7, s0, v2
	v_add_u32_e32 v4, v4, v5
	v_mul_lo_u32 v6, v2, v4
	v_mul_hi_u32 v8, v2, v7
	v_mul_hi_u32 v5, v2, v4
	v_add_co_u32_e32 v6, vcc, v8, v6
	v_addc_co_u32_e32 v5, vcc, 0, v5, vcc
	v_mul_hi_u32 v9, v3, v7
	v_mul_lo_u32 v7, v3, v7
	v_add_co_u32_e32 v6, vcc, v6, v7
	v_mul_hi_u32 v8, v3, v4
	v_addc_co_u32_e32 v5, vcc, v5, v9, vcc
	v_addc_co_u32_e32 v6, vcc, 0, v8, vcc
	v_mul_lo_u32 v4, v3, v4
	v_add_co_u32_e32 v4, vcc, v5, v4
	v_addc_co_u32_e32 v5, vcc, 0, v6, vcc
	v_add_co_u32_e32 v2, vcc, v2, v4
	v_addc_co_u32_e32 v3, vcc, v3, v5, vcc
	v_mul_lo_u32 v4, s0, v3
	v_mul_hi_u32 v5, s0, v2
	v_add_u32_e32 v4, v5, v4
	v_mul_lo_u32 v5, s1, v2
	v_add_u32_e32 v4, v4, v5
	v_mul_lo_u32 v6, s0, v2
	v_mul_hi_u32 v7, v3, v6
	v_mul_lo_u32 v8, v3, v6
	v_mul_lo_u32 v10, v2, v4
	v_mul_hi_u32 v6, v2, v6
	v_mul_hi_u32 v9, v2, v4
	v_add_co_u32_e32 v6, vcc, v6, v10
	v_addc_co_u32_e32 v9, vcc, 0, v9, vcc
	v_add_co_u32_e32 v6, vcc, v6, v8
	v_mul_hi_u32 v5, v3, v4
	v_addc_co_u32_e32 v6, vcc, v9, v7, vcc
	v_addc_co_u32_e32 v5, vcc, 0, v5, vcc
	v_mul_lo_u32 v4, v3, v4
	v_add_co_u32_e32 v4, vcc, v6, v4
	v_addc_co_u32_e32 v5, vcc, 0, v5, vcc
	v_add_co_u32_e32 v4, vcc, v2, v4
	v_addc_co_u32_e32 v5, vcc, v3, v5, vcc
	v_ashrrev_i32_e32 v6, 31, v1
	v_add_co_u32_e32 v2, vcc, v0, v6
	v_addc_co_u32_e32 v3, vcc, v1, v6, vcc
	v_xor_b32_e32 v8, v2, v6
	v_xor_b32_e32 v7, v3, v6
	v_mad_u64_u32 v[2:3], s[0:1], v8, v5, 0
	v_mul_hi_u32 v9, v8, v4
	v_add_co_u32_e32 v9, vcc, v9, v2
	v_addc_co_u32_e32 v10, vcc, 0, v3, vcc
	v_mad_u64_u32 v[2:3], s[0:1], v7, v5, 0
	v_mad_u64_u32 v[4:5], s[0:1], v7, v4, 0
	v_add_co_u32_e32 v4, vcc, v9, v4
	v_addc_co_u32_e32 v4, vcc, v10, v5, vcc
	v_addc_co_u32_e32 v3, vcc, 0, v3, vcc
	v_add_co_u32_e32 v4, vcc, v4, v2
	v_addc_co_u32_e32 v5, vcc, 0, v3, vcc
	v_mul_lo_u32 v9, s17, v4
	v_mul_lo_u32 v10, s16, v5
	v_mad_u64_u32 v[2:3], s[0:1], s16, v4, 0
	v_add3_u32 v3, v3, v10, v9
	v_sub_u32_e32 v9, v7, v3
	v_mov_b32_e32 v10, s17
	v_sub_co_u32_e32 v2, vcc, v8, v2
	v_subb_co_u32_e64 v8, s[0:1], v9, v10, vcc
	v_subrev_co_u32_e64 v9, s[0:1], s16, v2
	v_subbrev_co_u32_e64 v8, s[0:1], 0, v8, s[0:1]
	v_cmp_le_u32_e64 s[0:1], s17, v8
	v_cndmask_b32_e64 v10, 0, -1, s[0:1]
	v_cmp_le_u32_e64 s[0:1], s16, v9
	v_cndmask_b32_e64 v9, 0, -1, s[0:1]
	v_cmp_eq_u32_e64 s[0:1], s17, v8
	v_cndmask_b32_e64 v8, v10, v9, s[0:1]
	v_add_co_u32_e64 v9, s[0:1], 2, v4
	v_subb_co_u32_e32 v3, vcc, v7, v3, vcc
	v_addc_co_u32_e64 v10, s[0:1], 0, v5, s[0:1]
	v_cmp_le_u32_e32 vcc, s17, v3
	v_add_co_u32_e64 v11, s[0:1], 1, v4
	v_cndmask_b32_e64 v7, 0, -1, vcc
	v_cmp_le_u32_e32 vcc, s16, v2
	v_addc_co_u32_e64 v12, s[0:1], 0, v5, s[0:1]
	v_cndmask_b32_e64 v2, 0, -1, vcc
	v_cmp_eq_u32_e32 vcc, s17, v3
	v_cmp_ne_u32_e64 s[0:1], 0, v8
	v_cndmask_b32_e32 v2, v7, v2, vcc
	v_cndmask_b32_e64 v8, v12, v10, s[0:1]
	v_cmp_ne_u32_e32 vcc, 0, v2
	v_cndmask_b32_e64 v3, v11, v9, s[0:1]
	v_cndmask_b32_e32 v2, v5, v8, vcc
	v_cndmask_b32_e32 v3, v4, v3, vcc
	v_xor_b32_e32 v5, s12, v6
	v_xor_b32_e32 v3, v3, v5
	;; [unrolled: 1-line block ×3, first 2 shown]
	v_sub_co_u32_e32 v4, vcc, v3, v5
	v_subb_co_u32_e32 v5, vcc, v2, v5, vcc
.LBB73_3:
	s_andn2_saveexec_b64 s[0:1], s[2:3]
	s_cbranch_execz .LBB73_5
; %bb.4:
	v_cvt_f32_u32_e32 v2, s10
	s_sub_i32 s2, 0, s10
	v_rcp_iflag_f32_e32 v2, v2
	v_mul_f32_e32 v2, 0x4f7ffffe, v2
	v_cvt_u32_f32_e32 v2, v2
	v_mul_lo_u32 v3, s2, v2
	v_mul_hi_u32 v3, v2, v3
	v_add_u32_e32 v2, v2, v3
	v_mul_hi_u32 v2, v0, v2
	v_mul_lo_u32 v3, v2, s10
	v_sub_u32_e32 v3, v0, v3
	v_add_u32_e32 v4, 1, v2
	v_subrev_u32_e32 v5, s10, v3
	v_cmp_le_u32_e32 vcc, s10, v3
	v_cndmask_b32_e32 v3, v3, v5, vcc
	v_cndmask_b32_e32 v2, v2, v4, vcc
	v_add_u32_e32 v4, 1, v2
	v_cmp_le_u32_e32 vcc, s10, v3
	v_cndmask_b32_e32 v4, v2, v4, vcc
	v_mov_b32_e32 v5, 0
.LBB73_5:
	s_or_b64 exec, exec, s[0:1]
	v_or_b32_e32 v3, s15, v5
	v_mov_b32_e32 v2, 0
	v_cmp_ne_u64_e32 vcc, 0, v[2:3]
                                        ; implicit-def: $vgpr2_vgpr3
	s_and_saveexec_b64 s[0:1], vcc
	s_xor_b64 s[12:13], exec, s[0:1]
	s_cbranch_execz .LBB73_7
; %bb.6:
	s_ashr_i32 s0, s15, 31
	s_add_u32 s2, s14, s0
	s_mov_b32 s1, s0
	s_addc_u32 s3, s15, s0
	s_xor_b64 s[16:17], s[2:3], s[0:1]
	v_cvt_f32_u32_e32 v2, s16
	v_cvt_f32_u32_e32 v3, s17
	s_sub_u32 s0, 0, s16
	s_subb_u32 s1, 0, s17
	v_madmk_f32 v2, v3, 0x4f800000, v2
	v_rcp_f32_e32 v2, v2
	v_mul_f32_e32 v2, 0x5f7ffffc, v2
	v_mul_f32_e32 v3, 0x2f800000, v2
	v_trunc_f32_e32 v3, v3
	v_madmk_f32 v2, v3, 0xcf800000, v2
	v_cvt_u32_f32_e32 v3, v3
	v_cvt_u32_f32_e32 v2, v2
	v_mul_lo_u32 v6, s0, v3
	v_mul_hi_u32 v8, s0, v2
	v_mul_lo_u32 v7, s1, v2
	v_add_u32_e32 v6, v8, v6
	v_mul_lo_u32 v9, s0, v2
	v_add_u32_e32 v6, v6, v7
	v_mul_lo_u32 v8, v2, v6
	v_mul_hi_u32 v10, v2, v9
	v_mul_hi_u32 v7, v2, v6
	v_add_co_u32_e32 v8, vcc, v10, v8
	v_addc_co_u32_e32 v7, vcc, 0, v7, vcc
	v_mul_hi_u32 v11, v3, v9
	v_mul_lo_u32 v9, v3, v9
	v_add_co_u32_e32 v8, vcc, v8, v9
	v_mul_hi_u32 v10, v3, v6
	v_addc_co_u32_e32 v7, vcc, v7, v11, vcc
	v_addc_co_u32_e32 v8, vcc, 0, v10, vcc
	v_mul_lo_u32 v6, v3, v6
	v_add_co_u32_e32 v6, vcc, v7, v6
	v_addc_co_u32_e32 v7, vcc, 0, v8, vcc
	v_add_co_u32_e32 v2, vcc, v2, v6
	v_addc_co_u32_e32 v3, vcc, v3, v7, vcc
	v_mul_lo_u32 v6, s0, v3
	v_mul_hi_u32 v7, s0, v2
	v_add_u32_e32 v6, v7, v6
	v_mul_lo_u32 v7, s1, v2
	v_add_u32_e32 v6, v6, v7
	v_mul_lo_u32 v8, s0, v2
	v_mul_hi_u32 v9, v3, v8
	v_mul_lo_u32 v10, v3, v8
	v_mul_lo_u32 v12, v2, v6
	v_mul_hi_u32 v8, v2, v8
	v_mul_hi_u32 v11, v2, v6
	v_add_co_u32_e32 v8, vcc, v8, v12
	v_addc_co_u32_e32 v11, vcc, 0, v11, vcc
	v_add_co_u32_e32 v8, vcc, v8, v10
	v_mul_hi_u32 v7, v3, v6
	v_addc_co_u32_e32 v8, vcc, v11, v9, vcc
	v_addc_co_u32_e32 v7, vcc, 0, v7, vcc
	v_mul_lo_u32 v6, v3, v6
	v_add_co_u32_e32 v6, vcc, v8, v6
	v_addc_co_u32_e32 v7, vcc, 0, v7, vcc
	v_add_co_u32_e32 v6, vcc, v2, v6
	v_addc_co_u32_e32 v7, vcc, v3, v7, vcc
	v_ashrrev_i32_e32 v8, 31, v5
	v_add_co_u32_e32 v2, vcc, v4, v8
	v_addc_co_u32_e32 v3, vcc, v5, v8, vcc
	v_xor_b32_e32 v10, v2, v8
	v_xor_b32_e32 v9, v3, v8
	v_mad_u64_u32 v[2:3], s[0:1], v10, v7, 0
	v_mul_hi_u32 v11, v10, v6
	v_add_co_u32_e32 v11, vcc, v11, v2
	v_addc_co_u32_e32 v12, vcc, 0, v3, vcc
	v_mad_u64_u32 v[2:3], s[0:1], v9, v7, 0
	v_mad_u64_u32 v[6:7], s[0:1], v9, v6, 0
	v_add_co_u32_e32 v6, vcc, v11, v6
	v_addc_co_u32_e32 v6, vcc, v12, v7, vcc
	v_addc_co_u32_e32 v3, vcc, 0, v3, vcc
	v_add_co_u32_e32 v2, vcc, v6, v2
	v_addc_co_u32_e32 v3, vcc, 0, v3, vcc
	v_mul_lo_u32 v6, s17, v2
	v_mul_lo_u32 v7, s16, v3
	v_mad_u64_u32 v[2:3], s[0:1], s16, v2, 0
	v_add3_u32 v3, v3, v7, v6
	v_sub_u32_e32 v6, v9, v3
	v_mov_b32_e32 v7, s17
	v_sub_co_u32_e32 v2, vcc, v10, v2
	v_subb_co_u32_e64 v6, s[0:1], v6, v7, vcc
	v_subrev_co_u32_e64 v10, s[0:1], s16, v2
	v_subbrev_co_u32_e64 v11, s[2:3], 0, v6, s[0:1]
	v_cmp_le_u32_e64 s[2:3], s17, v11
	v_cndmask_b32_e64 v12, 0, -1, s[2:3]
	v_cmp_le_u32_e64 s[2:3], s16, v10
	v_subb_co_u32_e64 v6, s[0:1], v6, v7, s[0:1]
	v_cndmask_b32_e64 v13, 0, -1, s[2:3]
	v_cmp_eq_u32_e64 s[2:3], s17, v11
	v_subrev_co_u32_e64 v7, s[0:1], s16, v10
	v_subb_co_u32_e32 v3, vcc, v9, v3, vcc
	v_cndmask_b32_e64 v12, v12, v13, s[2:3]
	v_subbrev_co_u32_e64 v6, s[0:1], 0, v6, s[0:1]
	v_cmp_le_u32_e32 vcc, s17, v3
	v_cmp_ne_u32_e64 s[0:1], 0, v12
	v_cndmask_b32_e64 v9, 0, -1, vcc
	v_cmp_le_u32_e32 vcc, s16, v2
	v_cndmask_b32_e64 v6, v11, v6, s[0:1]
	v_cndmask_b32_e64 v11, 0, -1, vcc
	v_cmp_eq_u32_e32 vcc, s17, v3
	v_cndmask_b32_e32 v9, v9, v11, vcc
	v_cmp_ne_u32_e32 vcc, 0, v9
	v_cndmask_b32_e32 v3, v3, v6, vcc
	v_cndmask_b32_e64 v6, v10, v7, s[0:1]
	v_cndmask_b32_e32 v2, v2, v6, vcc
	v_xor_b32_e32 v2, v2, v8
	v_xor_b32_e32 v3, v3, v8
	v_sub_co_u32_e32 v2, vcc, v2, v8
	v_subb_co_u32_e32 v3, vcc, v3, v8, vcc
.LBB73_7:
	s_or_saveexec_b64 s[0:1], s[12:13]
	s_load_dwordx2 s[2:3], s[4:5], 0xa8
	s_load_dwordx8 s[36:43], s[4:5], 0x88
	s_xor_b64 exec, exec, s[0:1]
	s_cbranch_execz .LBB73_9
; %bb.8:
	v_cvt_f32_u32_e32 v2, s14
	s_sub_i32 s12, 0, s14
	v_rcp_iflag_f32_e32 v2, v2
	v_mul_f32_e32 v2, 0x4f7ffffe, v2
	v_cvt_u32_f32_e32 v2, v2
	v_mul_lo_u32 v3, s12, v2
	v_mul_hi_u32 v3, v2, v3
	v_add_u32_e32 v2, v2, v3
	v_mul_hi_u32 v2, v4, v2
	v_mul_lo_u32 v2, v2, s14
	v_sub_u32_e32 v2, v4, v2
	v_subrev_u32_e32 v3, s14, v2
	v_cmp_le_u32_e32 vcc, s14, v2
	v_cndmask_b32_e32 v2, v2, v3, vcc
	v_subrev_u32_e32 v3, s14, v2
	v_cmp_le_u32_e32 vcc, s14, v2
	v_cndmask_b32_e32 v2, v2, v3, vcc
	v_mov_b32_e32 v3, 0
.LBB73_9:
	s_or_b64 exec, exec, s[0:1]
	s_load_dwordx2 s[30:31], s[4:5], 0x58
	s_load_dwordx2 s[28:29], s[4:5], 0x0
	v_or_b32_e32 v7, s9, v1
	v_mov_b32_e32 v6, 0
	v_cmp_ne_u64_e32 vcc, 0, v[6:7]
                                        ; implicit-def: $vgpr6_vgpr7
	s_and_saveexec_b64 s[0:1], vcc
	s_xor_b64 s[12:13], exec, s[0:1]
	s_cbranch_execz .LBB73_11
; %bb.10:
	s_ashr_i32 s14, s9, 31
	s_add_u32 s0, s6, s14
	s_mov_b32 s15, s14
	s_addc_u32 s1, s9, s14
	s_xor_b64 s[16:17], s[0:1], s[14:15]
	v_cvt_f32_u32_e32 v6, s16
	v_cvt_f32_u32_e32 v7, s17
	s_sub_u32 s0, 0, s16
	s_subb_u32 s1, 0, s17
	v_madmk_f32 v6, v7, 0x4f800000, v6
	v_rcp_f32_e32 v6, v6
	v_mul_f32_e32 v6, 0x5f7ffffc, v6
	v_mul_f32_e32 v7, 0x2f800000, v6
	v_trunc_f32_e32 v7, v7
	v_madmk_f32 v6, v7, 0xcf800000, v6
	v_cvt_u32_f32_e32 v7, v7
	v_cvt_u32_f32_e32 v6, v6
	v_mul_lo_u32 v8, s0, v7
	v_mul_hi_u32 v10, s0, v6
	v_mul_lo_u32 v9, s1, v6
	v_add_u32_e32 v8, v10, v8
	v_mul_lo_u32 v11, s0, v6
	v_add_u32_e32 v8, v8, v9
	v_mul_lo_u32 v10, v6, v8
	v_mul_hi_u32 v12, v6, v11
	v_mul_hi_u32 v9, v6, v8
	v_add_co_u32_e32 v10, vcc, v12, v10
	v_addc_co_u32_e32 v9, vcc, 0, v9, vcc
	v_mul_hi_u32 v13, v7, v11
	v_mul_lo_u32 v11, v7, v11
	v_add_co_u32_e32 v10, vcc, v10, v11
	v_mul_hi_u32 v12, v7, v8
	v_addc_co_u32_e32 v9, vcc, v9, v13, vcc
	v_addc_co_u32_e32 v10, vcc, 0, v12, vcc
	v_mul_lo_u32 v8, v7, v8
	v_add_co_u32_e32 v8, vcc, v9, v8
	v_addc_co_u32_e32 v9, vcc, 0, v10, vcc
	v_add_co_u32_e32 v6, vcc, v6, v8
	v_addc_co_u32_e32 v7, vcc, v7, v9, vcc
	v_mul_lo_u32 v8, s0, v7
	v_mul_hi_u32 v9, s0, v6
	v_add_u32_e32 v8, v9, v8
	v_mul_lo_u32 v9, s1, v6
	v_add_u32_e32 v8, v8, v9
	v_mul_lo_u32 v10, s0, v6
	v_mul_hi_u32 v11, v7, v10
	v_mul_lo_u32 v12, v7, v10
	v_mul_lo_u32 v14, v6, v8
	v_mul_hi_u32 v10, v6, v10
	v_mul_hi_u32 v13, v6, v8
	v_add_co_u32_e32 v10, vcc, v10, v14
	v_addc_co_u32_e32 v13, vcc, 0, v13, vcc
	v_add_co_u32_e32 v10, vcc, v10, v12
	v_mul_hi_u32 v9, v7, v8
	v_addc_co_u32_e32 v10, vcc, v13, v11, vcc
	v_addc_co_u32_e32 v9, vcc, 0, v9, vcc
	v_mul_lo_u32 v8, v7, v8
	v_add_co_u32_e32 v8, vcc, v10, v8
	v_addc_co_u32_e32 v9, vcc, 0, v9, vcc
	v_add_co_u32_e32 v8, vcc, v6, v8
	v_addc_co_u32_e32 v9, vcc, v7, v9, vcc
	v_ashrrev_i32_e32 v10, 31, v1
	v_add_co_u32_e32 v6, vcc, v0, v10
	v_addc_co_u32_e32 v7, vcc, v1, v10, vcc
	v_xor_b32_e32 v12, v6, v10
	v_xor_b32_e32 v11, v7, v10
	v_mad_u64_u32 v[6:7], s[0:1], v12, v9, 0
	v_mul_hi_u32 v13, v12, v8
	v_add_co_u32_e32 v13, vcc, v13, v6
	v_addc_co_u32_e32 v14, vcc, 0, v7, vcc
	v_mad_u64_u32 v[6:7], s[0:1], v11, v9, 0
	v_mad_u64_u32 v[8:9], s[0:1], v11, v8, 0
	v_add_co_u32_e32 v8, vcc, v13, v8
	v_addc_co_u32_e32 v8, vcc, v14, v9, vcc
	v_addc_co_u32_e32 v7, vcc, 0, v7, vcc
	v_add_co_u32_e32 v8, vcc, v8, v6
	v_addc_co_u32_e32 v9, vcc, 0, v7, vcc
	v_mul_lo_u32 v13, s17, v8
	v_mul_lo_u32 v14, s16, v9
	v_mad_u64_u32 v[6:7], s[0:1], s16, v8, 0
	v_add3_u32 v7, v7, v14, v13
	v_sub_u32_e32 v13, v11, v7
	v_mov_b32_e32 v14, s17
	v_sub_co_u32_e32 v6, vcc, v12, v6
	v_subb_co_u32_e64 v12, s[0:1], v13, v14, vcc
	v_subrev_co_u32_e64 v13, s[0:1], s16, v6
	v_subbrev_co_u32_e64 v12, s[0:1], 0, v12, s[0:1]
	v_cmp_le_u32_e64 s[0:1], s17, v12
	v_cndmask_b32_e64 v14, 0, -1, s[0:1]
	v_cmp_le_u32_e64 s[0:1], s16, v13
	v_cndmask_b32_e64 v13, 0, -1, s[0:1]
	v_cmp_eq_u32_e64 s[0:1], s17, v12
	v_cndmask_b32_e64 v12, v14, v13, s[0:1]
	v_add_co_u32_e64 v13, s[0:1], 2, v8
	v_subb_co_u32_e32 v7, vcc, v11, v7, vcc
	v_addc_co_u32_e64 v14, s[0:1], 0, v9, s[0:1]
	v_cmp_le_u32_e32 vcc, s17, v7
	v_add_co_u32_e64 v15, s[0:1], 1, v8
	v_cndmask_b32_e64 v11, 0, -1, vcc
	v_cmp_le_u32_e32 vcc, s16, v6
	v_addc_co_u32_e64 v16, s[0:1], 0, v9, s[0:1]
	v_cndmask_b32_e64 v6, 0, -1, vcc
	v_cmp_eq_u32_e32 vcc, s17, v7
	v_cmp_ne_u32_e64 s[0:1], 0, v12
	v_cndmask_b32_e32 v6, v11, v6, vcc
	v_cndmask_b32_e64 v12, v16, v14, s[0:1]
	v_cmp_ne_u32_e32 vcc, 0, v6
	v_cndmask_b32_e64 v7, v15, v13, s[0:1]
	v_cndmask_b32_e32 v6, v9, v12, vcc
	v_cndmask_b32_e32 v7, v8, v7, vcc
	v_xor_b32_e32 v8, s14, v10
	v_xor_b32_e32 v9, v6, v8
	;; [unrolled: 1-line block ×3, first 2 shown]
	v_sub_co_u32_e32 v6, vcc, v6, v8
	v_subb_co_u32_e32 v7, vcc, v9, v8, vcc
.LBB73_11:
	s_or_saveexec_b64 s[0:1], s[12:13]
	s_load_dwordx16 s[12:27], s[4:5], 0x18
	s_xor_b64 exec, exec, s[0:1]
	s_cbranch_execz .LBB73_13
; %bb.12:
	v_cvt_f32_u32_e32 v6, s6
	s_sub_i32 s9, 0, s6
	v_rcp_iflag_f32_e32 v6, v6
	v_mul_f32_e32 v6, 0x4f7ffffe, v6
	v_cvt_u32_f32_e32 v6, v6
	v_mul_lo_u32 v7, s9, v6
	v_mul_hi_u32 v7, v6, v7
	v_add_u32_e32 v6, v6, v7
	v_mul_hi_u32 v6, v0, v6
	v_mul_lo_u32 v7, v6, s6
	v_sub_u32_e32 v7, v0, v7
	v_add_u32_e32 v8, 1, v6
	v_subrev_u32_e32 v9, s6, v7
	v_cmp_le_u32_e32 vcc, s6, v7
	v_cndmask_b32_e32 v7, v7, v9, vcc
	v_cndmask_b32_e32 v6, v6, v8, vcc
	v_add_u32_e32 v8, 1, v6
	v_cmp_le_u32_e32 vcc, s6, v7
	v_cndmask_b32_e32 v6, v6, v8, vcc
	v_mov_b32_e32 v7, 0
.LBB73_13:
	s_or_b64 exec, exec, s[0:1]
	s_load_dwordx8 s[44:51], s[4:5], 0xb0
	v_mul_lo_u32 v8, v5, s10
	v_mul_lo_u32 v9, v4, s11
	v_mad_u64_u32 v[4:5], s[0:1], v4, s10, 0
	s_load_dwordx2 s[0:1], s[4:5], 0xd0
	s_waitcnt lgkmcnt(0)
	s_sub_u32 s4, 0, s44
	s_subb_u32 s5, 0, s45
	s_sub_u32 s10, 0, s46
	s_subb_u32 s11, 0, s47
	;; [unrolled: 2-line block ×3, first 2 shown]
	v_cmp_gt_i64_e64 s[52:53], s[4:5], 0
	s_and_b64 s[52:53], s[52:53], exec
	s_cselect_b32 s6, s5, 0
	s_cselect_b32 s9, s4, 0
	v_cmp_gt_i64_e64 s[4:5], s[44:45], 0
	s_and_b64 s[4:5], s[4:5], exec
	v_cmp_gt_i64_e64 s[4:5], s[10:11], 0
	s_cselect_b32 s53, s45, 0
	s_cselect_b32 s52, s44, 0
	s_and_b64 s[4:5], s[4:5], exec
	v_add3_u32 v5, v5, v9, v8
	v_sub_co_u32_e32 v4, vcc, v0, v4
	v_cmp_gt_i64_e64 s[4:5], s[46:47], 0
	v_subb_co_u32_e32 v5, vcc, v1, v5, vcc
	s_cselect_b32 s33, s11, 0
	s_cselect_b32 s54, s10, 0
	s_and_b64 s[4:5], s[4:5], exec
	v_cmp_gt_i64_e64 s[4:5], s[34:35], 0
	v_mov_b32_e32 v1, s45
	v_subrev_co_u32_e32 v0, vcc, s44, v4
	s_cselect_b32 s11, s47, 0
	s_cselect_b32 s10, s46, 0
	s_and_b64 s[4:5], s[4:5], exec
	v_subb_co_u32_e32 v1, vcc, v5, v1, vcc
	v_cmp_gt_i64_e64 s[4:5], s[48:49], 0
	v_ashrrev_i32_e32 v8, 31, v1
	s_cselect_b32 s55, s35, 0
	s_cselect_b32 s56, s34, 0
	s_and_b64 s[4:5], s[4:5], exec
	v_xor_b32_e32 v0, v0, v8
	s_cselect_b32 s5, s49, 0
	s_cselect_b32 s4, s48, 0
	v_xor_b32_e32 v1, v1, v8
	v_sub_co_u32_e32 v9, vcc, v0, v8
	s_add_u32 s34, s16, s44
	v_subb_co_u32_e32 v8, vcc, v1, v8, vcc
	s_addc_u32 s35, s17, s45
	v_mov_b32_e32 v1, s35
	v_subrev_co_u32_e32 v0, vcc, s34, v4
	v_subb_co_u32_e32 v1, vcc, v5, v1, vcc
	v_add_co_u32_e32 v0, vcc, 1, v0
	v_addc_co_u32_e32 v1, vcc, 0, v1, vcc
	s_lshl_b64 s[34:35], s[44:45], 1
	s_not_b64 s[44:45], s[52:53]
	v_ashrrev_i32_e32 v10, 31, v1
	s_add_u32 s34, s34, s44
	v_xor_b32_e32 v0, v0, v10
	s_addc_u32 s35, s35, s45
	v_xor_b32_e32 v1, v1, v10
	v_sub_co_u32_e32 v0, vcc, v0, v10
	s_add_u32 s9, s34, s9
	v_subb_co_u32_e32 v1, vcc, v1, v10, vcc
	s_addc_u32 s6, s35, s6
	s_add_u32 s9, s9, s16
	v_add_co_u32_e32 v0, vcc, v4, v0
	s_addc_u32 s6, s6, s17
	v_addc_co_u32_e32 v1, vcc, v5, v1, vcc
	v_mov_b32_e32 v10, s6
	v_sub_co_u32_e32 v0, vcc, s9, v0
	v_subb_co_u32_e32 v1, vcc, v10, v1, vcc
	v_add_co_u32_e32 v9, vcc, v0, v9
	v_addc_co_u32_e32 v8, vcc, v1, v8, vcc
	v_mov_b32_e32 v0, s47
	v_subrev_co_u32_e32 v1, vcc, s46, v2
	v_subb_co_u32_e32 v0, vcc, v3, v0, vcc
	v_ashrrev_i32_e32 v10, 31, v0
	v_xor_b32_e32 v1, v1, v10
	v_xor_b32_e32 v0, v0, v10
	v_sub_co_u32_e32 v1, vcc, v1, v10
	s_add_u32 s6, s14, s46
	v_subb_co_u32_e32 v0, vcc, v0, v10, vcc
	s_addc_u32 s9, s15, s47
	v_mov_b32_e32 v10, s9
	v_subrev_co_u32_e32 v11, vcc, s6, v2
	v_subb_co_u32_e32 v10, vcc, v3, v10, vcc
	v_add_co_u32_e32 v11, vcc, 1, v11
	v_addc_co_u32_e32 v10, vcc, 0, v10, vcc
	s_lshl_b64 s[16:17], s[46:47], 1
	s_not_b64 s[10:11], s[10:11]
	v_ashrrev_i32_e32 v12, 31, v10
	s_add_u32 s6, s16, s10
	v_xor_b32_e32 v11, v11, v12
	s_addc_u32 s9, s17, s11
	v_xor_b32_e32 v10, v10, v12
	v_sub_co_u32_e32 v11, vcc, v11, v12
	s_add_u32 s6, s6, s54
	v_subb_co_u32_e32 v10, vcc, v10, v12, vcc
	s_addc_u32 s9, s9, s33
	s_add_u32 s6, s6, s14
	v_add_co_u32_e32 v11, vcc, v2, v11
	s_addc_u32 s9, s9, s15
	v_addc_co_u32_e32 v10, vcc, v3, v10, vcc
	v_mov_b32_e32 v12, s9
	v_sub_co_u32_e32 v11, vcc, s6, v11
	v_subb_co_u32_e32 v10, vcc, v12, v10, vcc
	v_add_co_u32_e32 v11, vcc, v11, v1
	v_addc_co_u32_e32 v10, vcc, v10, v0, vcc
	v_mov_b32_e32 v0, s49
	v_subrev_co_u32_e32 v1, vcc, s48, v6
	v_subb_co_u32_e32 v0, vcc, v7, v0, vcc
	v_ashrrev_i32_e32 v12, 31, v0
	v_xor_b32_e32 v1, v1, v12
	v_xor_b32_e32 v0, v0, v12
	v_sub_co_u32_e32 v1, vcc, v1, v12
	s_add_u32 s6, s12, s48
	v_subb_co_u32_e32 v0, vcc, v0, v12, vcc
	s_addc_u32 s9, s13, s49
	v_mov_b32_e32 v12, s9
	v_subrev_co_u32_e32 v13, vcc, s6, v6
	v_subb_co_u32_e32 v12, vcc, v7, v12, vcc
	v_add_co_u32_e32 v13, vcc, 1, v13
	v_addc_co_u32_e32 v12, vcc, 0, v12, vcc
	s_lshl_b64 s[10:11], s[48:49], 1
	s_not_b64 s[4:5], s[4:5]
	v_ashrrev_i32_e32 v14, 31, v12
	s_add_u32 s4, s10, s4
	v_xor_b32_e32 v13, v13, v14
	s_addc_u32 s5, s11, s5
	v_xor_b32_e32 v12, v12, v14
	v_sub_co_u32_e32 v13, vcc, v13, v14
	s_add_u32 s4, s4, s56
	v_subb_co_u32_e32 v12, vcc, v12, v14, vcc
	s_addc_u32 s5, s5, s55
	s_add_u32 s4, s4, s12
	v_add_co_u32_e32 v13, vcc, v6, v13
	s_addc_u32 s5, s5, s13
	v_addc_co_u32_e32 v12, vcc, v7, v12, vcc
	v_sub_co_u32_e32 v13, vcc, s4, v13
	s_add_u32 s4, s7, s50
	v_mov_b32_e32 v14, s5
	s_addc_u32 s5, 0, s51
	s_add_u32 s6, s8, s0
	s_addc_u32 s7, 0, s1
	s_mul_i32 s0, s36, s7
	s_mul_hi_u32 s1, s36, s6
	s_add_i32 s0, s1, s0
	s_mul_i32 s1, s37, s6
	s_add_i32 s1, s0, s1
	s_mul_i32 s0, s36, s6
	s_lshl_b64 s[0:1], s[0:1], 1
	s_add_u32 s8, s30, s0
	s_addc_u32 s9, s31, s1
	s_mul_i32 s0, s38, s5
	s_mul_hi_u32 s1, s38, s4
	s_add_i32 s0, s1, s0
	s_mul_i32 s1, s39, s4
	s_add_i32 s1, s0, s1
	s_mul_i32 s0, s38, s4
	v_subb_co_u32_e32 v12, vcc, v14, v12, vcc
	s_lshl_b64 s[0:1], s[0:1], 1
	v_add_co_u32_e32 v13, vcc, v13, v1
	s_add_u32 s8, s8, s0
	v_addc_co_u32_e32 v12, vcc, v12, v0, vcc
	s_addc_u32 s9, s9, s1
	v_mul_lo_u32 v7, v7, s40
	v_mul_lo_u32 v14, v6, s41
	v_mad_u64_u32 v[0:1], s[0:1], v6, s40, 0
	v_add3_u32 v1, v1, v14, v7
	v_lshlrev_b64 v[0:1], 1, v[0:1]
	v_mov_b32_e32 v6, s9
	v_add_co_u32_e32 v7, vcc, s8, v0
	v_addc_co_u32_e32 v6, vcc, v6, v1, vcc
	v_mul_lo_u32 v3, v3, s42
	v_mul_lo_u32 v14, v2, s43
	v_mad_u64_u32 v[0:1], s[0:1], v2, s42, 0
	v_add3_u32 v1, v1, v14, v3
	v_lshlrev_b64 v[0:1], 1, v[0:1]
	v_add_co_u32_e32 v2, vcc, v7, v0
	v_addc_co_u32_e32 v3, vcc, v6, v1, vcc
	v_mad_u64_u32 v[0:1], s[0:1], v4, s2, 0
	s_mul_i32 s0, s18, s7
	s_mul_hi_u32 s1, s18, s6
	s_add_i32 s0, s1, s0
	s_mul_i32 s1, s19, s6
	s_add_i32 s1, s0, s1
	s_mul_i32 s0, s18, s6
	s_lshl_b64 s[0:1], s[0:1], 1
	v_mul_lo_u32 v5, v5, s2
	s_add_u32 s2, s28, s0
	v_mul_lo_u32 v6, v4, s3
	s_addc_u32 s3, s29, s1
	s_mul_i32 s0, s20, s5
	s_mul_hi_u32 s1, s20, s4
	s_add_i32 s0, s1, s0
	s_mul_i32 s1, s21, s4
	v_add3_u32 v1, v1, v6, v5
	s_add_i32 s1, s0, s1
	s_mul_i32 s0, s20, s4
	v_lshlrev_b64 v[0:1], 1, v[0:1]
	s_lshl_b64 s[0:1], s[0:1], 1
	v_add_co_u32_e32 v0, vcc, v2, v0
	s_add_u32 s2, s2, s0
	v_addc_co_u32_e32 v1, vcc, v3, v1, vcc
	s_addc_u32 s3, s3, s1
	v_mul_lo_u32 v4, v12, s22
	v_mul_lo_u32 v5, v13, s23
	v_mad_u64_u32 v[2:3], s[0:1], v13, s22, 0
	v_add3_u32 v3, v3, v5, v4
	v_lshlrev_b64 v[2:3], 1, v[2:3]
	v_mov_b32_e32 v4, s3
	v_add_co_u32_e32 v5, vcc, s2, v2
	v_addc_co_u32_e32 v4, vcc, v4, v3, vcc
	v_mul_lo_u32 v6, v10, s24
	v_mul_lo_u32 v7, v11, s25
	v_mad_u64_u32 v[2:3], s[0:1], v11, s24, 0
	v_add3_u32 v3, v3, v7, v6
	v_lshlrev_b64 v[2:3], 1, v[2:3]
	v_add_co_u32_e32 v5, vcc, v5, v2
	v_addc_co_u32_e32 v4, vcc, v4, v3, vcc
	v_mul_lo_u32 v6, v8, s26
	v_mul_lo_u32 v7, v9, s27
	v_mad_u64_u32 v[2:3], s[0:1], v9, s26, 0
	v_add3_u32 v3, v3, v7, v6
	v_lshlrev_b64 v[2:3], 1, v[2:3]
	v_add_co_u32_e32 v2, vcc, v5, v2
	global_load_ushort v6, v[0:1], off
	v_addc_co_u32_e32 v1, vcc, v4, v3, vcc
	v_and_b32_e32 v0, -3, v2
	global_load_dword v3, v[0:1], off
	v_and_b32_e32 v4, 2, v2
	v_mov_b32_e32 v5, 0
	s_mov_b64 s[4:5], 0
	v_cmp_eq_u64_e32 vcc, 0, v[4:5]
	v_cmp_ne_u32_e64 s[0:1], 0, v4
	s_movk_i32 s6, 0x7fff
	s_mov_b32 s7, 0xffff0000
	v_mov_b32_e32 v5, 0x7fc0
	s_waitcnt vmcnt(1)
	v_lshlrev_b32_e32 v4, 16, v6
	s_branch .LBB73_15
.LBB73_14:                              ;   in Loop: Header=BB73_15 Depth=1
	s_or_b64 exec, exec, s[2:3]
	global_atomic_cmpswap v2, v[0:1], v[2:3], off glc
	s_waitcnt vmcnt(0)
	v_cmp_eq_u32_e64 s[2:3], v3, v2
	s_or_b64 s[4:5], s[2:3], s[4:5]
	v_mov_b32_e32 v3, v2
	s_andn2_b64 exec, exec, s[4:5]
	s_cbranch_execz .LBB73_19
.LBB73_15:                              ; =>This Inner Loop Header: Depth=1
	s_waitcnt vmcnt(0)
	v_lshrrev_b32_e32 v2, 16, v3
	v_cndmask_b32_e32 v2, v2, v3, vcc
	v_lshlrev_b32_e32 v2, 16, v2
	v_add_f32_e32 v2, v4, v2
	v_bfe_u32 v6, v2, 16, 1
	v_add3_u32 v6, v2, v6, s6
	v_lshrrev_b32_e32 v6, 16, v6
	v_cmp_o_f32_e64 s[2:3], v2, v2
	v_cndmask_b32_e64 v6, v5, v6, s[2:3]
	s_and_saveexec_b64 s[2:3], s[0:1]
	s_xor_b64 s[2:3], exec, s[2:3]
; %bb.16:                               ;   in Loop: Header=BB73_15 Depth=1
	v_and_b32_e32 v2, 0xffff, v3
	v_lshl_or_b32 v2, v6, 16, v2
                                        ; implicit-def: $vgpr6
; %bb.17:                               ;   in Loop: Header=BB73_15 Depth=1
	s_andn2_saveexec_b64 s[2:3], s[2:3]
	s_cbranch_execz .LBB73_14
; %bb.18:                               ;   in Loop: Header=BB73_15 Depth=1
	v_and_or_b32 v2, v3, s7, v6
	s_branch .LBB73_14
.LBB73_19:
	s_endpgm
	.section	.rodata,"a",@progbits
	.p2align	6, 0x0
	.amdhsa_kernel _ZN2at6native12_GLOBAL__N_136reflection_pad3d_backward_out_kernelIN3c108BFloat16EEEvN5torch10headeronly6detail27GenericPackedTensorAccessorINS7_14TensorAccessorINS3_8ArrayRefIlEET_Lm4ENS6_16DefaultPtrTraitsElEENS_6detail16IndexBoundsCheckILm5ElEESC_Lm5ESD_lEENS8_INS9_ISB_KSC_Lm4ESD_lEESH_SJ_Lm5ESD_lEElllll
		.amdhsa_group_segment_fixed_size 0
		.amdhsa_private_segment_fixed_size 0
		.amdhsa_kernarg_size 472
		.amdhsa_user_sgpr_count 6
		.amdhsa_user_sgpr_private_segment_buffer 1
		.amdhsa_user_sgpr_dispatch_ptr 0
		.amdhsa_user_sgpr_queue_ptr 0
		.amdhsa_user_sgpr_kernarg_segment_ptr 1
		.amdhsa_user_sgpr_dispatch_id 0
		.amdhsa_user_sgpr_flat_scratch_init 0
		.amdhsa_user_sgpr_kernarg_preload_length 0
		.amdhsa_user_sgpr_kernarg_preload_offset 0
		.amdhsa_user_sgpr_private_segment_size 0
		.amdhsa_uses_dynamic_stack 0
		.amdhsa_system_sgpr_private_segment_wavefront_offset 0
		.amdhsa_system_sgpr_workgroup_id_x 1
		.amdhsa_system_sgpr_workgroup_id_y 1
		.amdhsa_system_sgpr_workgroup_id_z 1
		.amdhsa_system_sgpr_workgroup_info 0
		.amdhsa_system_vgpr_workitem_id 0
		.amdhsa_next_free_vgpr 17
		.amdhsa_next_free_sgpr 57
		.amdhsa_accum_offset 20
		.amdhsa_reserve_vcc 1
		.amdhsa_reserve_flat_scratch 0
		.amdhsa_float_round_mode_32 0
		.amdhsa_float_round_mode_16_64 0
		.amdhsa_float_denorm_mode_32 3
		.amdhsa_float_denorm_mode_16_64 3
		.amdhsa_dx10_clamp 1
		.amdhsa_ieee_mode 1
		.amdhsa_fp16_overflow 0
		.amdhsa_tg_split 0
		.amdhsa_exception_fp_ieee_invalid_op 0
		.amdhsa_exception_fp_denorm_src 0
		.amdhsa_exception_fp_ieee_div_zero 0
		.amdhsa_exception_fp_ieee_overflow 0
		.amdhsa_exception_fp_ieee_underflow 0
		.amdhsa_exception_fp_ieee_inexact 0
		.amdhsa_exception_int_div_zero 0
	.end_amdhsa_kernel
	.section	.text._ZN2at6native12_GLOBAL__N_136reflection_pad3d_backward_out_kernelIN3c108BFloat16EEEvN5torch10headeronly6detail27GenericPackedTensorAccessorINS7_14TensorAccessorINS3_8ArrayRefIlEET_Lm4ENS6_16DefaultPtrTraitsElEENS_6detail16IndexBoundsCheckILm5ElEESC_Lm5ESD_lEENS8_INS9_ISB_KSC_Lm4ESD_lEESH_SJ_Lm5ESD_lEElllll,"axG",@progbits,_ZN2at6native12_GLOBAL__N_136reflection_pad3d_backward_out_kernelIN3c108BFloat16EEEvN5torch10headeronly6detail27GenericPackedTensorAccessorINS7_14TensorAccessorINS3_8ArrayRefIlEET_Lm4ENS6_16DefaultPtrTraitsElEENS_6detail16IndexBoundsCheckILm5ElEESC_Lm5ESD_lEENS8_INS9_ISB_KSC_Lm4ESD_lEESH_SJ_Lm5ESD_lEElllll,comdat
.Lfunc_end73:
	.size	_ZN2at6native12_GLOBAL__N_136reflection_pad3d_backward_out_kernelIN3c108BFloat16EEEvN5torch10headeronly6detail27GenericPackedTensorAccessorINS7_14TensorAccessorINS3_8ArrayRefIlEET_Lm4ENS6_16DefaultPtrTraitsElEENS_6detail16IndexBoundsCheckILm5ElEESC_Lm5ESD_lEENS8_INS9_ISB_KSC_Lm4ESD_lEESH_SJ_Lm5ESD_lEElllll, .Lfunc_end73-_ZN2at6native12_GLOBAL__N_136reflection_pad3d_backward_out_kernelIN3c108BFloat16EEEvN5torch10headeronly6detail27GenericPackedTensorAccessorINS7_14TensorAccessorINS3_8ArrayRefIlEET_Lm4ENS6_16DefaultPtrTraitsElEENS_6detail16IndexBoundsCheckILm5ElEESC_Lm5ESD_lEENS8_INS9_ISB_KSC_Lm4ESD_lEESH_SJ_Lm5ESD_lEElllll
                                        ; -- End function
	.section	.AMDGPU.csdata,"",@progbits
; Kernel info:
; codeLenInByte = 3876
; NumSgprs: 61
; NumVgprs: 17
; NumAgprs: 0
; TotalNumVgprs: 17
; ScratchSize: 0
; MemoryBound: 0
; FloatMode: 240
; IeeeMode: 1
; LDSByteSize: 0 bytes/workgroup (compile time only)
; SGPRBlocks: 7
; VGPRBlocks: 2
; NumSGPRsForWavesPerEU: 61
; NumVGPRsForWavesPerEU: 17
; AccumOffset: 20
; Occupancy: 8
; WaveLimiterHint : 0
; COMPUTE_PGM_RSRC2:SCRATCH_EN: 0
; COMPUTE_PGM_RSRC2:USER_SGPR: 6
; COMPUTE_PGM_RSRC2:TRAP_HANDLER: 0
; COMPUTE_PGM_RSRC2:TGID_X_EN: 1
; COMPUTE_PGM_RSRC2:TGID_Y_EN: 1
; COMPUTE_PGM_RSRC2:TGID_Z_EN: 1
; COMPUTE_PGM_RSRC2:TIDIG_COMP_CNT: 0
; COMPUTE_PGM_RSRC3_GFX90A:ACCUM_OFFSET: 4
; COMPUTE_PGM_RSRC3_GFX90A:TG_SPLIT: 0
	.text
	.p2alignl 6, 3212836864
	.fill 256, 4, 3212836864
	.type	__hip_cuid_c8ef1927ddc215f4,@object ; @__hip_cuid_c8ef1927ddc215f4
	.section	.bss,"aw",@nobits
	.globl	__hip_cuid_c8ef1927ddc215f4
__hip_cuid_c8ef1927ddc215f4:
	.byte	0                               ; 0x0
	.size	__hip_cuid_c8ef1927ddc215f4, 1

	.ident	"AMD clang version 19.0.0git (https://github.com/RadeonOpenCompute/llvm-project roc-6.4.0 25133 c7fe45cf4b819c5991fe208aaa96edf142730f1d)"
	.section	".note.GNU-stack","",@progbits
	.addrsig
	.addrsig_sym __hip_cuid_c8ef1927ddc215f4
	.amdgpu_metadata
---
amdhsa.kernels:
  - .agpr_count:     0
    .args:
      - .address_space:  global
        .offset:         0
        .size:           8
        .value_kind:     global_buffer
      - .address_space:  global
        .offset:         8
        .size:           8
        .value_kind:     global_buffer
      - .offset:         16
        .size:           8
        .value_kind:     by_value
      - .offset:         24
        .size:           8
        .value_kind:     by_value
      - .offset:         32
        .size:           4
        .value_kind:     by_value
      - .offset:         36
        .size:           4
        .value_kind:     by_value
      - .offset:         40
        .size:           4
        .value_kind:     by_value
      - .offset:         44
        .size:           4
        .value_kind:     by_value
      - .offset:         48
        .size:           4
        .value_kind:     by_value
      - .offset:         52
        .size:           4
        .value_kind:     by_value
      - .offset:         56
        .size:           4
        .value_kind:     by_value
      - .offset:         64
        .size:           4
        .value_kind:     hidden_block_count_x
      - .offset:         68
        .size:           4
        .value_kind:     hidden_block_count_y
      - .offset:         72
        .size:           4
        .value_kind:     hidden_block_count_z
      - .offset:         76
        .size:           2
        .value_kind:     hidden_group_size_x
      - .offset:         78
        .size:           2
        .value_kind:     hidden_group_size_y
      - .offset:         80
        .size:           2
        .value_kind:     hidden_group_size_z
      - .offset:         82
        .size:           2
        .value_kind:     hidden_remainder_x
      - .offset:         84
        .size:           2
        .value_kind:     hidden_remainder_y
      - .offset:         86
        .size:           2
        .value_kind:     hidden_remainder_z
      - .offset:         104
        .size:           8
        .value_kind:     hidden_global_offset_x
      - .offset:         112
        .size:           8
        .value_kind:     hidden_global_offset_y
      - .offset:         120
        .size:           8
        .value_kind:     hidden_global_offset_z
      - .offset:         128
        .size:           2
        .value_kind:     hidden_grid_dims
    .group_segment_fixed_size: 0
    .kernarg_segment_align: 8
    .kernarg_segment_size: 320
    .language:       OpenCL C
    .language_version:
      - 2
      - 0
    .max_flat_workgroup_size: 1024
    .name:           _ZN2at6native12_GLOBAL__N_127reflection_pad2d_out_kernelIhEEvPKT_PS3_lliiiiiii
    .private_segment_fixed_size: 0
    .sgpr_count:     40
    .sgpr_spill_count: 0
    .symbol:         _ZN2at6native12_GLOBAL__N_127reflection_pad2d_out_kernelIhEEvPKT_PS3_lliiiiiii.kd
    .uniform_work_group_size: 1
    .uses_dynamic_stack: false
    .vgpr_count:     13
    .vgpr_spill_count: 0
    .wavefront_size: 64
  - .agpr_count:     0
    .args:
      - .address_space:  global
        .offset:         0
        .size:           8
        .value_kind:     global_buffer
      - .address_space:  global
        .offset:         8
        .size:           8
        .value_kind:     global_buffer
      - .offset:         16
        .size:           8
        .value_kind:     by_value
      - .offset:         24
        .size:           8
        .value_kind:     by_value
      - .offset:         32
        .size:           4
        .value_kind:     by_value
      - .offset:         36
        .size:           4
        .value_kind:     by_value
      - .offset:         40
        .size:           4
        .value_kind:     by_value
      - .offset:         44
        .size:           4
        .value_kind:     by_value
      - .offset:         48
        .size:           4
        .value_kind:     by_value
      - .offset:         52
        .size:           4
        .value_kind:     by_value
      - .offset:         56
        .size:           4
        .value_kind:     by_value
      - .offset:         64
        .size:           4
        .value_kind:     hidden_block_count_x
      - .offset:         68
        .size:           4
        .value_kind:     hidden_block_count_y
      - .offset:         72
        .size:           4
        .value_kind:     hidden_block_count_z
      - .offset:         76
        .size:           2
        .value_kind:     hidden_group_size_x
      - .offset:         78
        .size:           2
        .value_kind:     hidden_group_size_y
      - .offset:         80
        .size:           2
        .value_kind:     hidden_group_size_z
      - .offset:         82
        .size:           2
        .value_kind:     hidden_remainder_x
      - .offset:         84
        .size:           2
        .value_kind:     hidden_remainder_y
      - .offset:         86
        .size:           2
        .value_kind:     hidden_remainder_z
      - .offset:         104
        .size:           8
        .value_kind:     hidden_global_offset_x
      - .offset:         112
        .size:           8
        .value_kind:     hidden_global_offset_y
      - .offset:         120
        .size:           8
        .value_kind:     hidden_global_offset_z
      - .offset:         128
        .size:           2
        .value_kind:     hidden_grid_dims
    .group_segment_fixed_size: 0
    .kernarg_segment_align: 8
    .kernarg_segment_size: 320
    .language:       OpenCL C
    .language_version:
      - 2
      - 0
    .max_flat_workgroup_size: 1024
    .name:           _ZN2at6native12_GLOBAL__N_127reflection_pad2d_out_kernelIaEEvPKT_PS3_lliiiiiii
    .private_segment_fixed_size: 0
    .sgpr_count:     40
    .sgpr_spill_count: 0
    .symbol:         _ZN2at6native12_GLOBAL__N_127reflection_pad2d_out_kernelIaEEvPKT_PS3_lliiiiiii.kd
    .uniform_work_group_size: 1
    .uses_dynamic_stack: false
    .vgpr_count:     13
    .vgpr_spill_count: 0
    .wavefront_size: 64
  - .agpr_count:     0
    .args:
      - .address_space:  global
        .offset:         0
        .size:           8
        .value_kind:     global_buffer
      - .address_space:  global
        .offset:         8
        .size:           8
        .value_kind:     global_buffer
      - .offset:         16
        .size:           8
        .value_kind:     by_value
      - .offset:         24
        .size:           8
        .value_kind:     by_value
      - .offset:         32
        .size:           4
        .value_kind:     by_value
      - .offset:         36
        .size:           4
        .value_kind:     by_value
      - .offset:         40
        .size:           4
        .value_kind:     by_value
      - .offset:         44
        .size:           4
        .value_kind:     by_value
      - .offset:         48
        .size:           4
        .value_kind:     by_value
      - .offset:         52
        .size:           4
        .value_kind:     by_value
      - .offset:         56
        .size:           4
        .value_kind:     by_value
      - .offset:         64
        .size:           4
        .value_kind:     hidden_block_count_x
      - .offset:         68
        .size:           4
        .value_kind:     hidden_block_count_y
      - .offset:         72
        .size:           4
        .value_kind:     hidden_block_count_z
      - .offset:         76
        .size:           2
        .value_kind:     hidden_group_size_x
      - .offset:         78
        .size:           2
        .value_kind:     hidden_group_size_y
      - .offset:         80
        .size:           2
        .value_kind:     hidden_group_size_z
      - .offset:         82
        .size:           2
        .value_kind:     hidden_remainder_x
      - .offset:         84
        .size:           2
        .value_kind:     hidden_remainder_y
      - .offset:         86
        .size:           2
        .value_kind:     hidden_remainder_z
      - .offset:         104
        .size:           8
        .value_kind:     hidden_global_offset_x
      - .offset:         112
        .size:           8
        .value_kind:     hidden_global_offset_y
      - .offset:         120
        .size:           8
        .value_kind:     hidden_global_offset_z
      - .offset:         128
        .size:           2
        .value_kind:     hidden_grid_dims
    .group_segment_fixed_size: 0
    .kernarg_segment_align: 8
    .kernarg_segment_size: 320
    .language:       OpenCL C
    .language_version:
      - 2
      - 0
    .max_flat_workgroup_size: 1024
    .name:           _ZN2at6native12_GLOBAL__N_127reflection_pad2d_out_kernelIiEEvPKT_PS3_lliiiiiii
    .private_segment_fixed_size: 0
    .sgpr_count:     40
    .sgpr_spill_count: 0
    .symbol:         _ZN2at6native12_GLOBAL__N_127reflection_pad2d_out_kernelIiEEvPKT_PS3_lliiiiiii.kd
    .uniform_work_group_size: 1
    .uses_dynamic_stack: false
    .vgpr_count:     13
    .vgpr_spill_count: 0
    .wavefront_size: 64
  - .agpr_count:     0
    .args:
      - .address_space:  global
        .offset:         0
        .size:           8
        .value_kind:     global_buffer
      - .address_space:  global
        .offset:         8
        .size:           8
        .value_kind:     global_buffer
      - .offset:         16
        .size:           8
        .value_kind:     by_value
      - .offset:         24
        .size:           8
        .value_kind:     by_value
      - .offset:         32
        .size:           4
        .value_kind:     by_value
      - .offset:         36
        .size:           4
        .value_kind:     by_value
      - .offset:         40
        .size:           4
        .value_kind:     by_value
      - .offset:         44
        .size:           4
        .value_kind:     by_value
      - .offset:         48
        .size:           4
        .value_kind:     by_value
      - .offset:         52
        .size:           4
        .value_kind:     by_value
      - .offset:         56
        .size:           4
        .value_kind:     by_value
      - .offset:         64
        .size:           4
        .value_kind:     hidden_block_count_x
      - .offset:         68
        .size:           4
        .value_kind:     hidden_block_count_y
      - .offset:         72
        .size:           4
        .value_kind:     hidden_block_count_z
      - .offset:         76
        .size:           2
        .value_kind:     hidden_group_size_x
      - .offset:         78
        .size:           2
        .value_kind:     hidden_group_size_y
      - .offset:         80
        .size:           2
        .value_kind:     hidden_group_size_z
      - .offset:         82
        .size:           2
        .value_kind:     hidden_remainder_x
      - .offset:         84
        .size:           2
        .value_kind:     hidden_remainder_y
      - .offset:         86
        .size:           2
        .value_kind:     hidden_remainder_z
      - .offset:         104
        .size:           8
        .value_kind:     hidden_global_offset_x
      - .offset:         112
        .size:           8
        .value_kind:     hidden_global_offset_y
      - .offset:         120
        .size:           8
        .value_kind:     hidden_global_offset_z
      - .offset:         128
        .size:           2
        .value_kind:     hidden_grid_dims
    .group_segment_fixed_size: 0
    .kernarg_segment_align: 8
    .kernarg_segment_size: 320
    .language:       OpenCL C
    .language_version:
      - 2
      - 0
    .max_flat_workgroup_size: 1024
    .name:           _ZN2at6native12_GLOBAL__N_127reflection_pad2d_out_kernelIlEEvPKT_PS3_lliiiiiii
    .private_segment_fixed_size: 0
    .sgpr_count:     40
    .sgpr_spill_count: 0
    .symbol:         _ZN2at6native12_GLOBAL__N_127reflection_pad2d_out_kernelIlEEvPKT_PS3_lliiiiiii.kd
    .uniform_work_group_size: 1
    .uses_dynamic_stack: false
    .vgpr_count:     13
    .vgpr_spill_count: 0
    .wavefront_size: 64
  - .agpr_count:     0
    .args:
      - .address_space:  global
        .offset:         0
        .size:           8
        .value_kind:     global_buffer
      - .address_space:  global
        .offset:         8
        .size:           8
        .value_kind:     global_buffer
      - .offset:         16
        .size:           8
        .value_kind:     by_value
      - .offset:         24
        .size:           8
        .value_kind:     by_value
      - .offset:         32
        .size:           4
        .value_kind:     by_value
      - .offset:         36
        .size:           4
        .value_kind:     by_value
      - .offset:         40
        .size:           4
        .value_kind:     by_value
      - .offset:         44
        .size:           4
        .value_kind:     by_value
      - .offset:         48
        .size:           4
        .value_kind:     by_value
      - .offset:         52
        .size:           4
        .value_kind:     by_value
      - .offset:         56
        .size:           4
        .value_kind:     by_value
      - .offset:         64
        .size:           4
        .value_kind:     hidden_block_count_x
      - .offset:         68
        .size:           4
        .value_kind:     hidden_block_count_y
      - .offset:         72
        .size:           4
        .value_kind:     hidden_block_count_z
      - .offset:         76
        .size:           2
        .value_kind:     hidden_group_size_x
      - .offset:         78
        .size:           2
        .value_kind:     hidden_group_size_y
      - .offset:         80
        .size:           2
        .value_kind:     hidden_group_size_z
      - .offset:         82
        .size:           2
        .value_kind:     hidden_remainder_x
      - .offset:         84
        .size:           2
        .value_kind:     hidden_remainder_y
      - .offset:         86
        .size:           2
        .value_kind:     hidden_remainder_z
      - .offset:         104
        .size:           8
        .value_kind:     hidden_global_offset_x
      - .offset:         112
        .size:           8
        .value_kind:     hidden_global_offset_y
      - .offset:         120
        .size:           8
        .value_kind:     hidden_global_offset_z
      - .offset:         128
        .size:           2
        .value_kind:     hidden_grid_dims
    .group_segment_fixed_size: 0
    .kernarg_segment_align: 8
    .kernarg_segment_size: 320
    .language:       OpenCL C
    .language_version:
      - 2
      - 0
    .max_flat_workgroup_size: 1024
    .name:           _ZN2at6native12_GLOBAL__N_127reflection_pad2d_out_kernelIsEEvPKT_PS3_lliiiiiii
    .private_segment_fixed_size: 0
    .sgpr_count:     40
    .sgpr_spill_count: 0
    .symbol:         _ZN2at6native12_GLOBAL__N_127reflection_pad2d_out_kernelIsEEvPKT_PS3_lliiiiiii.kd
    .uniform_work_group_size: 1
    .uses_dynamic_stack: false
    .vgpr_count:     13
    .vgpr_spill_count: 0
    .wavefront_size: 64
  - .agpr_count:     0
    .args:
      - .address_space:  global
        .offset:         0
        .size:           8
        .value_kind:     global_buffer
      - .address_space:  global
        .offset:         8
        .size:           8
        .value_kind:     global_buffer
      - .offset:         16
        .size:           8
        .value_kind:     by_value
      - .offset:         24
        .size:           8
        .value_kind:     by_value
      - .offset:         32
        .size:           4
        .value_kind:     by_value
      - .offset:         36
        .size:           4
        .value_kind:     by_value
      - .offset:         40
        .size:           4
        .value_kind:     by_value
      - .offset:         44
        .size:           4
        .value_kind:     by_value
      - .offset:         48
        .size:           4
        .value_kind:     by_value
      - .offset:         52
        .size:           4
        .value_kind:     by_value
      - .offset:         56
        .size:           4
        .value_kind:     by_value
      - .offset:         64
        .size:           4
        .value_kind:     hidden_block_count_x
      - .offset:         68
        .size:           4
        .value_kind:     hidden_block_count_y
      - .offset:         72
        .size:           4
        .value_kind:     hidden_block_count_z
      - .offset:         76
        .size:           2
        .value_kind:     hidden_group_size_x
      - .offset:         78
        .size:           2
        .value_kind:     hidden_group_size_y
      - .offset:         80
        .size:           2
        .value_kind:     hidden_group_size_z
      - .offset:         82
        .size:           2
        .value_kind:     hidden_remainder_x
      - .offset:         84
        .size:           2
        .value_kind:     hidden_remainder_y
      - .offset:         86
        .size:           2
        .value_kind:     hidden_remainder_z
      - .offset:         104
        .size:           8
        .value_kind:     hidden_global_offset_x
      - .offset:         112
        .size:           8
        .value_kind:     hidden_global_offset_y
      - .offset:         120
        .size:           8
        .value_kind:     hidden_global_offset_z
      - .offset:         128
        .size:           2
        .value_kind:     hidden_grid_dims
    .group_segment_fixed_size: 0
    .kernarg_segment_align: 8
    .kernarg_segment_size: 320
    .language:       OpenCL C
    .language_version:
      - 2
      - 0
    .max_flat_workgroup_size: 1024
    .name:           _ZN2at6native12_GLOBAL__N_127reflection_pad2d_out_kernelIdEEvPKT_PS3_lliiiiiii
    .private_segment_fixed_size: 0
    .sgpr_count:     40
    .sgpr_spill_count: 0
    .symbol:         _ZN2at6native12_GLOBAL__N_127reflection_pad2d_out_kernelIdEEvPKT_PS3_lliiiiiii.kd
    .uniform_work_group_size: 1
    .uses_dynamic_stack: false
    .vgpr_count:     13
    .vgpr_spill_count: 0
    .wavefront_size: 64
  - .agpr_count:     0
    .args:
      - .address_space:  global
        .offset:         0
        .size:           8
        .value_kind:     global_buffer
      - .address_space:  global
        .offset:         8
        .size:           8
        .value_kind:     global_buffer
      - .offset:         16
        .size:           8
        .value_kind:     by_value
      - .offset:         24
        .size:           8
        .value_kind:     by_value
      - .offset:         32
        .size:           4
        .value_kind:     by_value
      - .offset:         36
        .size:           4
        .value_kind:     by_value
      - .offset:         40
        .size:           4
        .value_kind:     by_value
      - .offset:         44
        .size:           4
        .value_kind:     by_value
      - .offset:         48
        .size:           4
        .value_kind:     by_value
      - .offset:         52
        .size:           4
        .value_kind:     by_value
      - .offset:         56
        .size:           4
        .value_kind:     by_value
      - .offset:         64
        .size:           4
        .value_kind:     hidden_block_count_x
      - .offset:         68
        .size:           4
        .value_kind:     hidden_block_count_y
      - .offset:         72
        .size:           4
        .value_kind:     hidden_block_count_z
      - .offset:         76
        .size:           2
        .value_kind:     hidden_group_size_x
      - .offset:         78
        .size:           2
        .value_kind:     hidden_group_size_y
      - .offset:         80
        .size:           2
        .value_kind:     hidden_group_size_z
      - .offset:         82
        .size:           2
        .value_kind:     hidden_remainder_x
      - .offset:         84
        .size:           2
        .value_kind:     hidden_remainder_y
      - .offset:         86
        .size:           2
        .value_kind:     hidden_remainder_z
      - .offset:         104
        .size:           8
        .value_kind:     hidden_global_offset_x
      - .offset:         112
        .size:           8
        .value_kind:     hidden_global_offset_y
      - .offset:         120
        .size:           8
        .value_kind:     hidden_global_offset_z
      - .offset:         128
        .size:           2
        .value_kind:     hidden_grid_dims
    .group_segment_fixed_size: 0
    .kernarg_segment_align: 8
    .kernarg_segment_size: 320
    .language:       OpenCL C
    .language_version:
      - 2
      - 0
    .max_flat_workgroup_size: 1024
    .name:           _ZN2at6native12_GLOBAL__N_127reflection_pad2d_out_kernelIfEEvPKT_PS3_lliiiiiii
    .private_segment_fixed_size: 0
    .sgpr_count:     40
    .sgpr_spill_count: 0
    .symbol:         _ZN2at6native12_GLOBAL__N_127reflection_pad2d_out_kernelIfEEvPKT_PS3_lliiiiiii.kd
    .uniform_work_group_size: 1
    .uses_dynamic_stack: false
    .vgpr_count:     13
    .vgpr_spill_count: 0
    .wavefront_size: 64
  - .agpr_count:     0
    .args:
      - .address_space:  global
        .offset:         0
        .size:           8
        .value_kind:     global_buffer
      - .address_space:  global
        .offset:         8
        .size:           8
        .value_kind:     global_buffer
      - .offset:         16
        .size:           8
        .value_kind:     by_value
      - .offset:         24
        .size:           8
        .value_kind:     by_value
      - .offset:         32
        .size:           4
        .value_kind:     by_value
      - .offset:         36
        .size:           4
        .value_kind:     by_value
      - .offset:         40
        .size:           4
        .value_kind:     by_value
      - .offset:         44
        .size:           4
        .value_kind:     by_value
      - .offset:         48
        .size:           4
        .value_kind:     by_value
      - .offset:         52
        .size:           4
        .value_kind:     by_value
      - .offset:         56
        .size:           4
        .value_kind:     by_value
      - .offset:         64
        .size:           4
        .value_kind:     hidden_block_count_x
      - .offset:         68
        .size:           4
        .value_kind:     hidden_block_count_y
      - .offset:         72
        .size:           4
        .value_kind:     hidden_block_count_z
      - .offset:         76
        .size:           2
        .value_kind:     hidden_group_size_x
      - .offset:         78
        .size:           2
        .value_kind:     hidden_group_size_y
      - .offset:         80
        .size:           2
        .value_kind:     hidden_group_size_z
      - .offset:         82
        .size:           2
        .value_kind:     hidden_remainder_x
      - .offset:         84
        .size:           2
        .value_kind:     hidden_remainder_y
      - .offset:         86
        .size:           2
        .value_kind:     hidden_remainder_z
      - .offset:         104
        .size:           8
        .value_kind:     hidden_global_offset_x
      - .offset:         112
        .size:           8
        .value_kind:     hidden_global_offset_y
      - .offset:         120
        .size:           8
        .value_kind:     hidden_global_offset_z
      - .offset:         128
        .size:           2
        .value_kind:     hidden_grid_dims
    .group_segment_fixed_size: 0
    .kernarg_segment_align: 8
    .kernarg_segment_size: 320
    .language:       OpenCL C
    .language_version:
      - 2
      - 0
    .max_flat_workgroup_size: 1024
    .name:           _ZN2at6native12_GLOBAL__N_127reflection_pad2d_out_kernelIN3c107complexIdEEEEvPKT_PS6_lliiiiiii
    .private_segment_fixed_size: 0
    .sgpr_count:     40
    .sgpr_spill_count: 0
    .symbol:         _ZN2at6native12_GLOBAL__N_127reflection_pad2d_out_kernelIN3c107complexIdEEEEvPKT_PS6_lliiiiiii.kd
    .uniform_work_group_size: 1
    .uses_dynamic_stack: false
    .vgpr_count:     13
    .vgpr_spill_count: 0
    .wavefront_size: 64
  - .agpr_count:     0
    .args:
      - .address_space:  global
        .offset:         0
        .size:           8
        .value_kind:     global_buffer
      - .address_space:  global
        .offset:         8
        .size:           8
        .value_kind:     global_buffer
      - .offset:         16
        .size:           8
        .value_kind:     by_value
      - .offset:         24
        .size:           8
        .value_kind:     by_value
      - .offset:         32
        .size:           4
        .value_kind:     by_value
      - .offset:         36
        .size:           4
        .value_kind:     by_value
      - .offset:         40
        .size:           4
        .value_kind:     by_value
      - .offset:         44
        .size:           4
        .value_kind:     by_value
      - .offset:         48
        .size:           4
        .value_kind:     by_value
      - .offset:         52
        .size:           4
        .value_kind:     by_value
      - .offset:         56
        .size:           4
        .value_kind:     by_value
      - .offset:         64
        .size:           4
        .value_kind:     hidden_block_count_x
      - .offset:         68
        .size:           4
        .value_kind:     hidden_block_count_y
      - .offset:         72
        .size:           4
        .value_kind:     hidden_block_count_z
      - .offset:         76
        .size:           2
        .value_kind:     hidden_group_size_x
      - .offset:         78
        .size:           2
        .value_kind:     hidden_group_size_y
      - .offset:         80
        .size:           2
        .value_kind:     hidden_group_size_z
      - .offset:         82
        .size:           2
        .value_kind:     hidden_remainder_x
      - .offset:         84
        .size:           2
        .value_kind:     hidden_remainder_y
      - .offset:         86
        .size:           2
        .value_kind:     hidden_remainder_z
      - .offset:         104
        .size:           8
        .value_kind:     hidden_global_offset_x
      - .offset:         112
        .size:           8
        .value_kind:     hidden_global_offset_y
      - .offset:         120
        .size:           8
        .value_kind:     hidden_global_offset_z
      - .offset:         128
        .size:           2
        .value_kind:     hidden_grid_dims
    .group_segment_fixed_size: 0
    .kernarg_segment_align: 8
    .kernarg_segment_size: 320
    .language:       OpenCL C
    .language_version:
      - 2
      - 0
    .max_flat_workgroup_size: 1024
    .name:           _ZN2at6native12_GLOBAL__N_127reflection_pad2d_out_kernelIN3c107complexIfEEEEvPKT_PS6_lliiiiiii
    .private_segment_fixed_size: 0
    .sgpr_count:     40
    .sgpr_spill_count: 0
    .symbol:         _ZN2at6native12_GLOBAL__N_127reflection_pad2d_out_kernelIN3c107complexIfEEEEvPKT_PS6_lliiiiiii.kd
    .uniform_work_group_size: 1
    .uses_dynamic_stack: false
    .vgpr_count:     13
    .vgpr_spill_count: 0
    .wavefront_size: 64
  - .agpr_count:     0
    .args:
      - .address_space:  global
        .offset:         0
        .size:           8
        .value_kind:     global_buffer
      - .address_space:  global
        .offset:         8
        .size:           8
        .value_kind:     global_buffer
      - .offset:         16
        .size:           8
        .value_kind:     by_value
      - .offset:         24
        .size:           8
        .value_kind:     by_value
      - .offset:         32
        .size:           4
        .value_kind:     by_value
      - .offset:         36
        .size:           4
        .value_kind:     by_value
      - .offset:         40
        .size:           4
        .value_kind:     by_value
      - .offset:         44
        .size:           4
        .value_kind:     by_value
      - .offset:         48
        .size:           4
        .value_kind:     by_value
      - .offset:         52
        .size:           4
        .value_kind:     by_value
      - .offset:         56
        .size:           4
        .value_kind:     by_value
      - .offset:         64
        .size:           4
        .value_kind:     hidden_block_count_x
      - .offset:         68
        .size:           4
        .value_kind:     hidden_block_count_y
      - .offset:         72
        .size:           4
        .value_kind:     hidden_block_count_z
      - .offset:         76
        .size:           2
        .value_kind:     hidden_group_size_x
      - .offset:         78
        .size:           2
        .value_kind:     hidden_group_size_y
      - .offset:         80
        .size:           2
        .value_kind:     hidden_group_size_z
      - .offset:         82
        .size:           2
        .value_kind:     hidden_remainder_x
      - .offset:         84
        .size:           2
        .value_kind:     hidden_remainder_y
      - .offset:         86
        .size:           2
        .value_kind:     hidden_remainder_z
      - .offset:         104
        .size:           8
        .value_kind:     hidden_global_offset_x
      - .offset:         112
        .size:           8
        .value_kind:     hidden_global_offset_y
      - .offset:         120
        .size:           8
        .value_kind:     hidden_global_offset_z
      - .offset:         128
        .size:           2
        .value_kind:     hidden_grid_dims
    .group_segment_fixed_size: 0
    .kernarg_segment_align: 8
    .kernarg_segment_size: 320
    .language:       OpenCL C
    .language_version:
      - 2
      - 0
    .max_flat_workgroup_size: 1024
    .name:           _ZN2at6native12_GLOBAL__N_127reflection_pad2d_out_kernelIN3c104HalfEEEvPKT_PS5_lliiiiiii
    .private_segment_fixed_size: 0
    .sgpr_count:     40
    .sgpr_spill_count: 0
    .symbol:         _ZN2at6native12_GLOBAL__N_127reflection_pad2d_out_kernelIN3c104HalfEEEvPKT_PS5_lliiiiiii.kd
    .uniform_work_group_size: 1
    .uses_dynamic_stack: false
    .vgpr_count:     13
    .vgpr_spill_count: 0
    .wavefront_size: 64
  - .agpr_count:     0
    .args:
      - .address_space:  global
        .offset:         0
        .size:           8
        .value_kind:     global_buffer
      - .address_space:  global
        .offset:         8
        .size:           8
        .value_kind:     global_buffer
      - .offset:         16
        .size:           8
        .value_kind:     by_value
      - .offset:         24
        .size:           8
        .value_kind:     by_value
      - .offset:         32
        .size:           4
        .value_kind:     by_value
      - .offset:         36
        .size:           4
        .value_kind:     by_value
      - .offset:         40
        .size:           4
        .value_kind:     by_value
      - .offset:         44
        .size:           4
        .value_kind:     by_value
      - .offset:         48
        .size:           4
        .value_kind:     by_value
      - .offset:         52
        .size:           4
        .value_kind:     by_value
      - .offset:         56
        .size:           4
        .value_kind:     by_value
      - .offset:         64
        .size:           4
        .value_kind:     hidden_block_count_x
      - .offset:         68
        .size:           4
        .value_kind:     hidden_block_count_y
      - .offset:         72
        .size:           4
        .value_kind:     hidden_block_count_z
      - .offset:         76
        .size:           2
        .value_kind:     hidden_group_size_x
      - .offset:         78
        .size:           2
        .value_kind:     hidden_group_size_y
      - .offset:         80
        .size:           2
        .value_kind:     hidden_group_size_z
      - .offset:         82
        .size:           2
        .value_kind:     hidden_remainder_x
      - .offset:         84
        .size:           2
        .value_kind:     hidden_remainder_y
      - .offset:         86
        .size:           2
        .value_kind:     hidden_remainder_z
      - .offset:         104
        .size:           8
        .value_kind:     hidden_global_offset_x
      - .offset:         112
        .size:           8
        .value_kind:     hidden_global_offset_y
      - .offset:         120
        .size:           8
        .value_kind:     hidden_global_offset_z
      - .offset:         128
        .size:           2
        .value_kind:     hidden_grid_dims
    .group_segment_fixed_size: 0
    .kernarg_segment_align: 8
    .kernarg_segment_size: 320
    .language:       OpenCL C
    .language_version:
      - 2
      - 0
    .max_flat_workgroup_size: 1024
    .name:           _ZN2at6native12_GLOBAL__N_127reflection_pad2d_out_kernelIN3c108BFloat16EEEvPKT_PS5_lliiiiiii
    .private_segment_fixed_size: 0
    .sgpr_count:     40
    .sgpr_spill_count: 0
    .symbol:         _ZN2at6native12_GLOBAL__N_127reflection_pad2d_out_kernelIN3c108BFloat16EEEvPKT_PS5_lliiiiiii.kd
    .uniform_work_group_size: 1
    .uses_dynamic_stack: false
    .vgpr_count:     13
    .vgpr_spill_count: 0
    .wavefront_size: 64
  - .agpr_count:     0
    .args:
      - .address_space:  global
        .offset:         0
        .size:           8
        .value_kind:     global_buffer
      - .address_space:  global
        .offset:         8
        .size:           8
        .value_kind:     global_buffer
      - .offset:         16
        .size:           8
        .value_kind:     by_value
      - .offset:         24
        .size:           8
        .value_kind:     by_value
      - .offset:         32
        .size:           4
        .value_kind:     by_value
      - .offset:         36
        .size:           4
        .value_kind:     by_value
      - .offset:         40
        .size:           4
        .value_kind:     by_value
      - .offset:         44
        .size:           4
        .value_kind:     by_value
      - .offset:         48
        .size:           4
        .value_kind:     by_value
      - .offset:         52
        .size:           4
        .value_kind:     by_value
      - .offset:         56
        .size:           4
        .value_kind:     by_value
      - .offset:         64
        .size:           4
        .value_kind:     hidden_block_count_x
      - .offset:         68
        .size:           4
        .value_kind:     hidden_block_count_y
      - .offset:         72
        .size:           4
        .value_kind:     hidden_block_count_z
      - .offset:         76
        .size:           2
        .value_kind:     hidden_group_size_x
      - .offset:         78
        .size:           2
        .value_kind:     hidden_group_size_y
      - .offset:         80
        .size:           2
        .value_kind:     hidden_group_size_z
      - .offset:         82
        .size:           2
        .value_kind:     hidden_remainder_x
      - .offset:         84
        .size:           2
        .value_kind:     hidden_remainder_y
      - .offset:         86
        .size:           2
        .value_kind:     hidden_remainder_z
      - .offset:         104
        .size:           8
        .value_kind:     hidden_global_offset_x
      - .offset:         112
        .size:           8
        .value_kind:     hidden_global_offset_y
      - .offset:         120
        .size:           8
        .value_kind:     hidden_global_offset_z
      - .offset:         128
        .size:           2
        .value_kind:     hidden_grid_dims
    .group_segment_fixed_size: 0
    .kernarg_segment_align: 8
    .kernarg_segment_size: 320
    .language:       OpenCL C
    .language_version:
      - 2
      - 0
    .max_flat_workgroup_size: 1024
    .name:           _ZN2at6native12_GLOBAL__N_140reflection_pad2d_backward_det_out_kernelIdEEvPT_PKS3_lliiiiiii
    .private_segment_fixed_size: 0
    .sgpr_count:     73
    .sgpr_spill_count: 0
    .symbol:         _ZN2at6native12_GLOBAL__N_140reflection_pad2d_backward_det_out_kernelIdEEvPT_PKS3_lliiiiiii.kd
    .uniform_work_group_size: 1
    .uses_dynamic_stack: false
    .vgpr_count:     34
    .vgpr_spill_count: 0
    .wavefront_size: 64
  - .agpr_count:     0
    .args:
      - .address_space:  global
        .offset:         0
        .size:           8
        .value_kind:     global_buffer
      - .address_space:  global
        .offset:         8
        .size:           8
        .value_kind:     global_buffer
      - .offset:         16
        .size:           8
        .value_kind:     by_value
      - .offset:         24
        .size:           8
        .value_kind:     by_value
      - .offset:         32
        .size:           4
        .value_kind:     by_value
      - .offset:         36
        .size:           4
        .value_kind:     by_value
      - .offset:         40
        .size:           4
        .value_kind:     by_value
      - .offset:         44
        .size:           4
        .value_kind:     by_value
      - .offset:         48
        .size:           4
        .value_kind:     by_value
      - .offset:         52
        .size:           4
        .value_kind:     by_value
      - .offset:         56
        .size:           4
        .value_kind:     by_value
      - .offset:         64
        .size:           4
        .value_kind:     hidden_block_count_x
      - .offset:         68
        .size:           4
        .value_kind:     hidden_block_count_y
      - .offset:         72
        .size:           4
        .value_kind:     hidden_block_count_z
      - .offset:         76
        .size:           2
        .value_kind:     hidden_group_size_x
      - .offset:         78
        .size:           2
        .value_kind:     hidden_group_size_y
      - .offset:         80
        .size:           2
        .value_kind:     hidden_group_size_z
      - .offset:         82
        .size:           2
        .value_kind:     hidden_remainder_x
      - .offset:         84
        .size:           2
        .value_kind:     hidden_remainder_y
      - .offset:         86
        .size:           2
        .value_kind:     hidden_remainder_z
      - .offset:         104
        .size:           8
        .value_kind:     hidden_global_offset_x
      - .offset:         112
        .size:           8
        .value_kind:     hidden_global_offset_y
      - .offset:         120
        .size:           8
        .value_kind:     hidden_global_offset_z
      - .offset:         128
        .size:           2
        .value_kind:     hidden_grid_dims
    .group_segment_fixed_size: 0
    .kernarg_segment_align: 8
    .kernarg_segment_size: 320
    .language:       OpenCL C
    .language_version:
      - 2
      - 0
    .max_flat_workgroup_size: 1024
    .name:           _ZN2at6native12_GLOBAL__N_136reflection_pad2d_backward_out_kernelIdEEvPT_PKS3_lliiiiiii
    .private_segment_fixed_size: 0
    .sgpr_count:     40
    .sgpr_spill_count: 0
    .symbol:         _ZN2at6native12_GLOBAL__N_136reflection_pad2d_backward_out_kernelIdEEvPT_PKS3_lliiiiiii.kd
    .uniform_work_group_size: 1
    .uses_dynamic_stack: false
    .vgpr_count:     15
    .vgpr_spill_count: 0
    .wavefront_size: 64
  - .agpr_count:     0
    .args:
      - .address_space:  global
        .offset:         0
        .size:           8
        .value_kind:     global_buffer
      - .address_space:  global
        .offset:         8
        .size:           8
        .value_kind:     global_buffer
      - .offset:         16
        .size:           8
        .value_kind:     by_value
      - .offset:         24
        .size:           8
        .value_kind:     by_value
      - .offset:         32
        .size:           4
        .value_kind:     by_value
      - .offset:         36
        .size:           4
        .value_kind:     by_value
      - .offset:         40
        .size:           4
        .value_kind:     by_value
      - .offset:         44
        .size:           4
        .value_kind:     by_value
      - .offset:         48
        .size:           4
        .value_kind:     by_value
      - .offset:         52
        .size:           4
        .value_kind:     by_value
      - .offset:         56
        .size:           4
        .value_kind:     by_value
      - .offset:         64
        .size:           4
        .value_kind:     hidden_block_count_x
      - .offset:         68
        .size:           4
        .value_kind:     hidden_block_count_y
      - .offset:         72
        .size:           4
        .value_kind:     hidden_block_count_z
      - .offset:         76
        .size:           2
        .value_kind:     hidden_group_size_x
      - .offset:         78
        .size:           2
        .value_kind:     hidden_group_size_y
      - .offset:         80
        .size:           2
        .value_kind:     hidden_group_size_z
      - .offset:         82
        .size:           2
        .value_kind:     hidden_remainder_x
      - .offset:         84
        .size:           2
        .value_kind:     hidden_remainder_y
      - .offset:         86
        .size:           2
        .value_kind:     hidden_remainder_z
      - .offset:         104
        .size:           8
        .value_kind:     hidden_global_offset_x
      - .offset:         112
        .size:           8
        .value_kind:     hidden_global_offset_y
      - .offset:         120
        .size:           8
        .value_kind:     hidden_global_offset_z
      - .offset:         128
        .size:           2
        .value_kind:     hidden_grid_dims
    .group_segment_fixed_size: 0
    .kernarg_segment_align: 8
    .kernarg_segment_size: 320
    .language:       OpenCL C
    .language_version:
      - 2
      - 0
    .max_flat_workgroup_size: 1024
    .name:           _ZN2at6native12_GLOBAL__N_140reflection_pad2d_backward_det_out_kernelIfEEvPT_PKS3_lliiiiiii
    .private_segment_fixed_size: 0
    .sgpr_count:     73
    .sgpr_spill_count: 0
    .symbol:         _ZN2at6native12_GLOBAL__N_140reflection_pad2d_backward_det_out_kernelIfEEvPT_PKS3_lliiiiiii.kd
    .uniform_work_group_size: 1
    .uses_dynamic_stack: false
    .vgpr_count:     33
    .vgpr_spill_count: 0
    .wavefront_size: 64
  - .agpr_count:     0
    .args:
      - .address_space:  global
        .offset:         0
        .size:           8
        .value_kind:     global_buffer
      - .address_space:  global
        .offset:         8
        .size:           8
        .value_kind:     global_buffer
      - .offset:         16
        .size:           8
        .value_kind:     by_value
      - .offset:         24
        .size:           8
        .value_kind:     by_value
      - .offset:         32
        .size:           4
        .value_kind:     by_value
      - .offset:         36
        .size:           4
        .value_kind:     by_value
      - .offset:         40
        .size:           4
        .value_kind:     by_value
      - .offset:         44
        .size:           4
        .value_kind:     by_value
      - .offset:         48
        .size:           4
        .value_kind:     by_value
      - .offset:         52
        .size:           4
        .value_kind:     by_value
      - .offset:         56
        .size:           4
        .value_kind:     by_value
      - .offset:         64
        .size:           4
        .value_kind:     hidden_block_count_x
      - .offset:         68
        .size:           4
        .value_kind:     hidden_block_count_y
      - .offset:         72
        .size:           4
        .value_kind:     hidden_block_count_z
      - .offset:         76
        .size:           2
        .value_kind:     hidden_group_size_x
      - .offset:         78
        .size:           2
        .value_kind:     hidden_group_size_y
      - .offset:         80
        .size:           2
        .value_kind:     hidden_group_size_z
      - .offset:         82
        .size:           2
        .value_kind:     hidden_remainder_x
      - .offset:         84
        .size:           2
        .value_kind:     hidden_remainder_y
      - .offset:         86
        .size:           2
        .value_kind:     hidden_remainder_z
      - .offset:         104
        .size:           8
        .value_kind:     hidden_global_offset_x
      - .offset:         112
        .size:           8
        .value_kind:     hidden_global_offset_y
      - .offset:         120
        .size:           8
        .value_kind:     hidden_global_offset_z
      - .offset:         128
        .size:           2
        .value_kind:     hidden_grid_dims
    .group_segment_fixed_size: 0
    .kernarg_segment_align: 8
    .kernarg_segment_size: 320
    .language:       OpenCL C
    .language_version:
      - 2
      - 0
    .max_flat_workgroup_size: 1024
    .name:           _ZN2at6native12_GLOBAL__N_136reflection_pad2d_backward_out_kernelIfEEvPT_PKS3_lliiiiiii
    .private_segment_fixed_size: 0
    .sgpr_count:     40
    .sgpr_spill_count: 0
    .symbol:         _ZN2at6native12_GLOBAL__N_136reflection_pad2d_backward_out_kernelIfEEvPT_PKS3_lliiiiiii.kd
    .uniform_work_group_size: 1
    .uses_dynamic_stack: false
    .vgpr_count:     15
    .vgpr_spill_count: 0
    .wavefront_size: 64
  - .agpr_count:     0
    .args:
      - .address_space:  global
        .offset:         0
        .size:           8
        .value_kind:     global_buffer
      - .address_space:  global
        .offset:         8
        .size:           8
        .value_kind:     global_buffer
      - .offset:         16
        .size:           8
        .value_kind:     by_value
      - .offset:         24
        .size:           8
        .value_kind:     by_value
      - .offset:         32
        .size:           4
        .value_kind:     by_value
      - .offset:         36
        .size:           4
        .value_kind:     by_value
      - .offset:         40
        .size:           4
        .value_kind:     by_value
      - .offset:         44
        .size:           4
        .value_kind:     by_value
      - .offset:         48
        .size:           4
        .value_kind:     by_value
      - .offset:         52
        .size:           4
        .value_kind:     by_value
      - .offset:         56
        .size:           4
        .value_kind:     by_value
      - .offset:         64
        .size:           4
        .value_kind:     hidden_block_count_x
      - .offset:         68
        .size:           4
        .value_kind:     hidden_block_count_y
      - .offset:         72
        .size:           4
        .value_kind:     hidden_block_count_z
      - .offset:         76
        .size:           2
        .value_kind:     hidden_group_size_x
      - .offset:         78
        .size:           2
        .value_kind:     hidden_group_size_y
      - .offset:         80
        .size:           2
        .value_kind:     hidden_group_size_z
      - .offset:         82
        .size:           2
        .value_kind:     hidden_remainder_x
      - .offset:         84
        .size:           2
        .value_kind:     hidden_remainder_y
      - .offset:         86
        .size:           2
        .value_kind:     hidden_remainder_z
      - .offset:         104
        .size:           8
        .value_kind:     hidden_global_offset_x
      - .offset:         112
        .size:           8
        .value_kind:     hidden_global_offset_y
      - .offset:         120
        .size:           8
        .value_kind:     hidden_global_offset_z
      - .offset:         128
        .size:           2
        .value_kind:     hidden_grid_dims
    .group_segment_fixed_size: 0
    .kernarg_segment_align: 8
    .kernarg_segment_size: 320
    .language:       OpenCL C
    .language_version:
      - 2
      - 0
    .max_flat_workgroup_size: 1024
    .name:           _ZN2at6native12_GLOBAL__N_140reflection_pad2d_backward_det_out_kernelIN3c107complexIdEEEEvPT_PKS6_lliiiiiii
    .private_segment_fixed_size: 0
    .sgpr_count:     73
    .sgpr_spill_count: 0
    .symbol:         _ZN2at6native12_GLOBAL__N_140reflection_pad2d_backward_det_out_kernelIN3c107complexIdEEEEvPT_PKS6_lliiiiiii.kd
    .uniform_work_group_size: 1
    .uses_dynamic_stack: false
    .vgpr_count:     36
    .vgpr_spill_count: 0
    .wavefront_size: 64
  - .agpr_count:     0
    .args:
      - .address_space:  global
        .offset:         0
        .size:           8
        .value_kind:     global_buffer
      - .address_space:  global
        .offset:         8
        .size:           8
        .value_kind:     global_buffer
      - .offset:         16
        .size:           8
        .value_kind:     by_value
      - .offset:         24
        .size:           8
        .value_kind:     by_value
      - .offset:         32
        .size:           4
        .value_kind:     by_value
      - .offset:         36
        .size:           4
        .value_kind:     by_value
      - .offset:         40
        .size:           4
        .value_kind:     by_value
      - .offset:         44
        .size:           4
        .value_kind:     by_value
      - .offset:         48
        .size:           4
        .value_kind:     by_value
      - .offset:         52
        .size:           4
        .value_kind:     by_value
      - .offset:         56
        .size:           4
        .value_kind:     by_value
      - .offset:         64
        .size:           4
        .value_kind:     hidden_block_count_x
      - .offset:         68
        .size:           4
        .value_kind:     hidden_block_count_y
      - .offset:         72
        .size:           4
        .value_kind:     hidden_block_count_z
      - .offset:         76
        .size:           2
        .value_kind:     hidden_group_size_x
      - .offset:         78
        .size:           2
        .value_kind:     hidden_group_size_y
      - .offset:         80
        .size:           2
        .value_kind:     hidden_group_size_z
      - .offset:         82
        .size:           2
        .value_kind:     hidden_remainder_x
      - .offset:         84
        .size:           2
        .value_kind:     hidden_remainder_y
      - .offset:         86
        .size:           2
        .value_kind:     hidden_remainder_z
      - .offset:         104
        .size:           8
        .value_kind:     hidden_global_offset_x
      - .offset:         112
        .size:           8
        .value_kind:     hidden_global_offset_y
      - .offset:         120
        .size:           8
        .value_kind:     hidden_global_offset_z
      - .offset:         128
        .size:           2
        .value_kind:     hidden_grid_dims
    .group_segment_fixed_size: 0
    .kernarg_segment_align: 8
    .kernarg_segment_size: 320
    .language:       OpenCL C
    .language_version:
      - 2
      - 0
    .max_flat_workgroup_size: 1024
    .name:           _ZN2at6native12_GLOBAL__N_136reflection_pad2d_backward_out_kernelIN3c107complexIdEEEEvPT_PKS6_lliiiiiii
    .private_segment_fixed_size: 0
    .sgpr_count:     40
    .sgpr_spill_count: 0
    .symbol:         _ZN2at6native12_GLOBAL__N_136reflection_pad2d_backward_out_kernelIN3c107complexIdEEEEvPT_PKS6_lliiiiiii.kd
    .uniform_work_group_size: 1
    .uses_dynamic_stack: false
    .vgpr_count:     13
    .vgpr_spill_count: 0
    .wavefront_size: 64
  - .agpr_count:     0
    .args:
      - .address_space:  global
        .offset:         0
        .size:           8
        .value_kind:     global_buffer
      - .address_space:  global
        .offset:         8
        .size:           8
        .value_kind:     global_buffer
      - .offset:         16
        .size:           8
        .value_kind:     by_value
      - .offset:         24
        .size:           8
        .value_kind:     by_value
      - .offset:         32
        .size:           4
        .value_kind:     by_value
      - .offset:         36
        .size:           4
        .value_kind:     by_value
      - .offset:         40
        .size:           4
        .value_kind:     by_value
      - .offset:         44
        .size:           4
        .value_kind:     by_value
      - .offset:         48
        .size:           4
        .value_kind:     by_value
      - .offset:         52
        .size:           4
        .value_kind:     by_value
      - .offset:         56
        .size:           4
        .value_kind:     by_value
      - .offset:         64
        .size:           4
        .value_kind:     hidden_block_count_x
      - .offset:         68
        .size:           4
        .value_kind:     hidden_block_count_y
      - .offset:         72
        .size:           4
        .value_kind:     hidden_block_count_z
      - .offset:         76
        .size:           2
        .value_kind:     hidden_group_size_x
      - .offset:         78
        .size:           2
        .value_kind:     hidden_group_size_y
      - .offset:         80
        .size:           2
        .value_kind:     hidden_group_size_z
      - .offset:         82
        .size:           2
        .value_kind:     hidden_remainder_x
      - .offset:         84
        .size:           2
        .value_kind:     hidden_remainder_y
      - .offset:         86
        .size:           2
        .value_kind:     hidden_remainder_z
      - .offset:         104
        .size:           8
        .value_kind:     hidden_global_offset_x
      - .offset:         112
        .size:           8
        .value_kind:     hidden_global_offset_y
      - .offset:         120
        .size:           8
        .value_kind:     hidden_global_offset_z
      - .offset:         128
        .size:           2
        .value_kind:     hidden_grid_dims
    .group_segment_fixed_size: 0
    .kernarg_segment_align: 8
    .kernarg_segment_size: 320
    .language:       OpenCL C
    .language_version:
      - 2
      - 0
    .max_flat_workgroup_size: 1024
    .name:           _ZN2at6native12_GLOBAL__N_140reflection_pad2d_backward_det_out_kernelIN3c107complexIfEEEEvPT_PKS6_lliiiiiii
    .private_segment_fixed_size: 0
    .sgpr_count:     75
    .sgpr_spill_count: 0
    .symbol:         _ZN2at6native12_GLOBAL__N_140reflection_pad2d_backward_det_out_kernelIN3c107complexIfEEEEvPT_PKS6_lliiiiiii.kd
    .uniform_work_group_size: 1
    .uses_dynamic_stack: false
    .vgpr_count:     34
    .vgpr_spill_count: 0
    .wavefront_size: 64
  - .agpr_count:     0
    .args:
      - .address_space:  global
        .offset:         0
        .size:           8
        .value_kind:     global_buffer
      - .address_space:  global
        .offset:         8
        .size:           8
        .value_kind:     global_buffer
      - .offset:         16
        .size:           8
        .value_kind:     by_value
      - .offset:         24
        .size:           8
        .value_kind:     by_value
      - .offset:         32
        .size:           4
        .value_kind:     by_value
      - .offset:         36
        .size:           4
        .value_kind:     by_value
      - .offset:         40
        .size:           4
        .value_kind:     by_value
      - .offset:         44
        .size:           4
        .value_kind:     by_value
      - .offset:         48
        .size:           4
        .value_kind:     by_value
      - .offset:         52
        .size:           4
        .value_kind:     by_value
      - .offset:         56
        .size:           4
        .value_kind:     by_value
      - .offset:         64
        .size:           4
        .value_kind:     hidden_block_count_x
      - .offset:         68
        .size:           4
        .value_kind:     hidden_block_count_y
      - .offset:         72
        .size:           4
        .value_kind:     hidden_block_count_z
      - .offset:         76
        .size:           2
        .value_kind:     hidden_group_size_x
      - .offset:         78
        .size:           2
        .value_kind:     hidden_group_size_y
      - .offset:         80
        .size:           2
        .value_kind:     hidden_group_size_z
      - .offset:         82
        .size:           2
        .value_kind:     hidden_remainder_x
      - .offset:         84
        .size:           2
        .value_kind:     hidden_remainder_y
      - .offset:         86
        .size:           2
        .value_kind:     hidden_remainder_z
      - .offset:         104
        .size:           8
        .value_kind:     hidden_global_offset_x
      - .offset:         112
        .size:           8
        .value_kind:     hidden_global_offset_y
      - .offset:         120
        .size:           8
        .value_kind:     hidden_global_offset_z
      - .offset:         128
        .size:           2
        .value_kind:     hidden_grid_dims
    .group_segment_fixed_size: 0
    .kernarg_segment_align: 8
    .kernarg_segment_size: 320
    .language:       OpenCL C
    .language_version:
      - 2
      - 0
    .max_flat_workgroup_size: 1024
    .name:           _ZN2at6native12_GLOBAL__N_136reflection_pad2d_backward_out_kernelIN3c107complexIfEEEEvPT_PKS6_lliiiiiii
    .private_segment_fixed_size: 0
    .sgpr_count:     40
    .sgpr_spill_count: 0
    .symbol:         _ZN2at6native12_GLOBAL__N_136reflection_pad2d_backward_out_kernelIN3c107complexIfEEEEvPT_PKS6_lliiiiiii.kd
    .uniform_work_group_size: 1
    .uses_dynamic_stack: false
    .vgpr_count:     13
    .vgpr_spill_count: 0
    .wavefront_size: 64
  - .agpr_count:     0
    .args:
      - .address_space:  global
        .offset:         0
        .size:           8
        .value_kind:     global_buffer
      - .address_space:  global
        .offset:         8
        .size:           8
        .value_kind:     global_buffer
      - .offset:         16
        .size:           8
        .value_kind:     by_value
      - .offset:         24
        .size:           8
        .value_kind:     by_value
      - .offset:         32
        .size:           4
        .value_kind:     by_value
      - .offset:         36
        .size:           4
        .value_kind:     by_value
      - .offset:         40
        .size:           4
        .value_kind:     by_value
      - .offset:         44
        .size:           4
        .value_kind:     by_value
      - .offset:         48
        .size:           4
        .value_kind:     by_value
      - .offset:         52
        .size:           4
        .value_kind:     by_value
      - .offset:         56
        .size:           4
        .value_kind:     by_value
      - .offset:         64
        .size:           4
        .value_kind:     hidden_block_count_x
      - .offset:         68
        .size:           4
        .value_kind:     hidden_block_count_y
      - .offset:         72
        .size:           4
        .value_kind:     hidden_block_count_z
      - .offset:         76
        .size:           2
        .value_kind:     hidden_group_size_x
      - .offset:         78
        .size:           2
        .value_kind:     hidden_group_size_y
      - .offset:         80
        .size:           2
        .value_kind:     hidden_group_size_z
      - .offset:         82
        .size:           2
        .value_kind:     hidden_remainder_x
      - .offset:         84
        .size:           2
        .value_kind:     hidden_remainder_y
      - .offset:         86
        .size:           2
        .value_kind:     hidden_remainder_z
      - .offset:         104
        .size:           8
        .value_kind:     hidden_global_offset_x
      - .offset:         112
        .size:           8
        .value_kind:     hidden_global_offset_y
      - .offset:         120
        .size:           8
        .value_kind:     hidden_global_offset_z
      - .offset:         128
        .size:           2
        .value_kind:     hidden_grid_dims
    .group_segment_fixed_size: 0
    .kernarg_segment_align: 8
    .kernarg_segment_size: 320
    .language:       OpenCL C
    .language_version:
      - 2
      - 0
    .max_flat_workgroup_size: 1024
    .name:           _ZN2at6native12_GLOBAL__N_140reflection_pad2d_backward_det_out_kernelIN3c104HalfEEEvPT_PKS5_lliiiiiii
    .private_segment_fixed_size: 0
    .sgpr_count:     73
    .sgpr_spill_count: 0
    .symbol:         _ZN2at6native12_GLOBAL__N_140reflection_pad2d_backward_det_out_kernelIN3c104HalfEEEvPT_PKS5_lliiiiiii.kd
    .uniform_work_group_size: 1
    .uses_dynamic_stack: false
    .vgpr_count:     33
    .vgpr_spill_count: 0
    .wavefront_size: 64
  - .agpr_count:     0
    .args:
      - .address_space:  global
        .offset:         0
        .size:           8
        .value_kind:     global_buffer
      - .address_space:  global
        .offset:         8
        .size:           8
        .value_kind:     global_buffer
      - .offset:         16
        .size:           8
        .value_kind:     by_value
      - .offset:         24
        .size:           8
        .value_kind:     by_value
      - .offset:         32
        .size:           4
        .value_kind:     by_value
      - .offset:         36
        .size:           4
        .value_kind:     by_value
      - .offset:         40
        .size:           4
        .value_kind:     by_value
      - .offset:         44
        .size:           4
        .value_kind:     by_value
      - .offset:         48
        .size:           4
        .value_kind:     by_value
      - .offset:         52
        .size:           4
        .value_kind:     by_value
      - .offset:         56
        .size:           4
        .value_kind:     by_value
      - .offset:         64
        .size:           4
        .value_kind:     hidden_block_count_x
      - .offset:         68
        .size:           4
        .value_kind:     hidden_block_count_y
      - .offset:         72
        .size:           4
        .value_kind:     hidden_block_count_z
      - .offset:         76
        .size:           2
        .value_kind:     hidden_group_size_x
      - .offset:         78
        .size:           2
        .value_kind:     hidden_group_size_y
      - .offset:         80
        .size:           2
        .value_kind:     hidden_group_size_z
      - .offset:         82
        .size:           2
        .value_kind:     hidden_remainder_x
      - .offset:         84
        .size:           2
        .value_kind:     hidden_remainder_y
      - .offset:         86
        .size:           2
        .value_kind:     hidden_remainder_z
      - .offset:         104
        .size:           8
        .value_kind:     hidden_global_offset_x
      - .offset:         112
        .size:           8
        .value_kind:     hidden_global_offset_y
      - .offset:         120
        .size:           8
        .value_kind:     hidden_global_offset_z
      - .offset:         128
        .size:           2
        .value_kind:     hidden_grid_dims
    .group_segment_fixed_size: 0
    .kernarg_segment_align: 8
    .kernarg_segment_size: 320
    .language:       OpenCL C
    .language_version:
      - 2
      - 0
    .max_flat_workgroup_size: 1024
    .name:           _ZN2at6native12_GLOBAL__N_136reflection_pad2d_backward_out_kernelIN3c104HalfEEEvPT_PKS5_lliiiiiii
    .private_segment_fixed_size: 0
    .sgpr_count:     40
    .sgpr_spill_count: 0
    .symbol:         _ZN2at6native12_GLOBAL__N_136reflection_pad2d_backward_out_kernelIN3c104HalfEEEvPT_PKS5_lliiiiiii.kd
    .uniform_work_group_size: 1
    .uses_dynamic_stack: false
    .vgpr_count:     13
    .vgpr_spill_count: 0
    .wavefront_size: 64
  - .agpr_count:     0
    .args:
      - .address_space:  global
        .offset:         0
        .size:           8
        .value_kind:     global_buffer
      - .address_space:  global
        .offset:         8
        .size:           8
        .value_kind:     global_buffer
      - .offset:         16
        .size:           8
        .value_kind:     by_value
      - .offset:         24
        .size:           8
        .value_kind:     by_value
      - .offset:         32
        .size:           4
        .value_kind:     by_value
      - .offset:         36
        .size:           4
        .value_kind:     by_value
      - .offset:         40
        .size:           4
        .value_kind:     by_value
      - .offset:         44
        .size:           4
        .value_kind:     by_value
      - .offset:         48
        .size:           4
        .value_kind:     by_value
      - .offset:         52
        .size:           4
        .value_kind:     by_value
      - .offset:         56
        .size:           4
        .value_kind:     by_value
      - .offset:         64
        .size:           4
        .value_kind:     hidden_block_count_x
      - .offset:         68
        .size:           4
        .value_kind:     hidden_block_count_y
      - .offset:         72
        .size:           4
        .value_kind:     hidden_block_count_z
      - .offset:         76
        .size:           2
        .value_kind:     hidden_group_size_x
      - .offset:         78
        .size:           2
        .value_kind:     hidden_group_size_y
      - .offset:         80
        .size:           2
        .value_kind:     hidden_group_size_z
      - .offset:         82
        .size:           2
        .value_kind:     hidden_remainder_x
      - .offset:         84
        .size:           2
        .value_kind:     hidden_remainder_y
      - .offset:         86
        .size:           2
        .value_kind:     hidden_remainder_z
      - .offset:         104
        .size:           8
        .value_kind:     hidden_global_offset_x
      - .offset:         112
        .size:           8
        .value_kind:     hidden_global_offset_y
      - .offset:         120
        .size:           8
        .value_kind:     hidden_global_offset_z
      - .offset:         128
        .size:           2
        .value_kind:     hidden_grid_dims
    .group_segment_fixed_size: 0
    .kernarg_segment_align: 8
    .kernarg_segment_size: 320
    .language:       OpenCL C
    .language_version:
      - 2
      - 0
    .max_flat_workgroup_size: 1024
    .name:           _ZN2at6native12_GLOBAL__N_140reflection_pad2d_backward_det_out_kernelIN3c108BFloat16EEEvPT_PKS5_lliiiiiii
    .private_segment_fixed_size: 0
    .sgpr_count:     74
    .sgpr_spill_count: 0
    .symbol:         _ZN2at6native12_GLOBAL__N_140reflection_pad2d_backward_det_out_kernelIN3c108BFloat16EEEvPT_PKS5_lliiiiiii.kd
    .uniform_work_group_size: 1
    .uses_dynamic_stack: false
    .vgpr_count:     35
    .vgpr_spill_count: 0
    .wavefront_size: 64
  - .agpr_count:     0
    .args:
      - .address_space:  global
        .offset:         0
        .size:           8
        .value_kind:     global_buffer
      - .address_space:  global
        .offset:         8
        .size:           8
        .value_kind:     global_buffer
      - .offset:         16
        .size:           8
        .value_kind:     by_value
      - .offset:         24
        .size:           8
        .value_kind:     by_value
      - .offset:         32
        .size:           4
        .value_kind:     by_value
      - .offset:         36
        .size:           4
        .value_kind:     by_value
      - .offset:         40
        .size:           4
        .value_kind:     by_value
      - .offset:         44
        .size:           4
        .value_kind:     by_value
      - .offset:         48
        .size:           4
        .value_kind:     by_value
      - .offset:         52
        .size:           4
        .value_kind:     by_value
      - .offset:         56
        .size:           4
        .value_kind:     by_value
      - .offset:         64
        .size:           4
        .value_kind:     hidden_block_count_x
      - .offset:         68
        .size:           4
        .value_kind:     hidden_block_count_y
      - .offset:         72
        .size:           4
        .value_kind:     hidden_block_count_z
      - .offset:         76
        .size:           2
        .value_kind:     hidden_group_size_x
      - .offset:         78
        .size:           2
        .value_kind:     hidden_group_size_y
      - .offset:         80
        .size:           2
        .value_kind:     hidden_group_size_z
      - .offset:         82
        .size:           2
        .value_kind:     hidden_remainder_x
      - .offset:         84
        .size:           2
        .value_kind:     hidden_remainder_y
      - .offset:         86
        .size:           2
        .value_kind:     hidden_remainder_z
      - .offset:         104
        .size:           8
        .value_kind:     hidden_global_offset_x
      - .offset:         112
        .size:           8
        .value_kind:     hidden_global_offset_y
      - .offset:         120
        .size:           8
        .value_kind:     hidden_global_offset_z
      - .offset:         128
        .size:           2
        .value_kind:     hidden_grid_dims
    .group_segment_fixed_size: 0
    .kernarg_segment_align: 8
    .kernarg_segment_size: 320
    .language:       OpenCL C
    .language_version:
      - 2
      - 0
    .max_flat_workgroup_size: 1024
    .name:           _ZN2at6native12_GLOBAL__N_136reflection_pad2d_backward_out_kernelIN3c108BFloat16EEEvPT_PKS5_lliiiiiii
    .private_segment_fixed_size: 0
    .sgpr_count:     40
    .sgpr_spill_count: 0
    .symbol:         _ZN2at6native12_GLOBAL__N_136reflection_pad2d_backward_out_kernelIN3c108BFloat16EEEvPT_PKS5_lliiiiiii.kd
    .uniform_work_group_size: 1
    .uses_dynamic_stack: false
    .vgpr_count:     13
    .vgpr_spill_count: 0
    .wavefront_size: 64
  - .agpr_count:     0
    .args:
      - .address_space:  global
        .offset:         0
        .size:           8
        .value_kind:     global_buffer
      - .address_space:  global
        .offset:         8
        .size:           8
        .value_kind:     global_buffer
      - .offset:         16
        .size:           8
        .value_kind:     by_value
      - .offset:         24
        .size:           8
        .value_kind:     by_value
      - .offset:         32
        .size:           8
        .value_kind:     by_value
      - .offset:         40
        .size:           4
        .value_kind:     hidden_block_count_x
      - .offset:         44
        .size:           4
        .value_kind:     hidden_block_count_y
      - .offset:         48
        .size:           4
        .value_kind:     hidden_block_count_z
      - .offset:         52
        .size:           2
        .value_kind:     hidden_group_size_x
      - .offset:         54
        .size:           2
        .value_kind:     hidden_group_size_y
      - .offset:         56
        .size:           2
        .value_kind:     hidden_group_size_z
      - .offset:         58
        .size:           2
        .value_kind:     hidden_remainder_x
      - .offset:         60
        .size:           2
        .value_kind:     hidden_remainder_y
      - .offset:         62
        .size:           2
        .value_kind:     hidden_remainder_z
      - .offset:         80
        .size:           8
        .value_kind:     hidden_global_offset_x
      - .offset:         88
        .size:           8
        .value_kind:     hidden_global_offset_y
      - .offset:         96
        .size:           8
        .value_kind:     hidden_global_offset_z
      - .offset:         104
        .size:           2
        .value_kind:     hidden_grid_dims
    .group_segment_fixed_size: 0
    .kernarg_segment_align: 8
    .kernarg_segment_size: 296
    .language:       OpenCL C
    .language_version:
      - 2
      - 0
    .max_flat_workgroup_size: 1024
    .name:           _ZN2at6native12_GLOBAL__N_127reflection_pad1d_out_kernelIhEEvPKT_PS3_lll
    .private_segment_fixed_size: 0
    .sgpr_count:     24
    .sgpr_spill_count: 0
    .symbol:         _ZN2at6native12_GLOBAL__N_127reflection_pad1d_out_kernelIhEEvPKT_PS3_lll.kd
    .uniform_work_group_size: 1
    .uses_dynamic_stack: false
    .vgpr_count:     7
    .vgpr_spill_count: 0
    .wavefront_size: 64
  - .agpr_count:     0
    .args:
      - .actual_access:  read_only
        .address_space:  global
        .offset:         0
        .size:           8
        .value_kind:     global_buffer
      - .actual_access:  write_only
        .address_space:  global
        .offset:         8
        .size:           8
        .value_kind:     global_buffer
      - .offset:         16
        .size:           8
        .value_kind:     by_value
      - .offset:         24
        .size:           8
        .value_kind:     by_value
      - .offset:         32
        .size:           8
        .value_kind:     by_value
      - .offset:         40
        .size:           8
        .value_kind:     by_value
      - .offset:         48
        .size:           8
        .value_kind:     by_value
      - .offset:         56
        .size:           4
        .value_kind:     hidden_block_count_x
      - .offset:         60
        .size:           4
        .value_kind:     hidden_block_count_y
      - .offset:         64
        .size:           4
        .value_kind:     hidden_block_count_z
      - .offset:         68
        .size:           2
        .value_kind:     hidden_group_size_x
      - .offset:         70
        .size:           2
        .value_kind:     hidden_group_size_y
      - .offset:         72
        .size:           2
        .value_kind:     hidden_group_size_z
      - .offset:         74
        .size:           2
        .value_kind:     hidden_remainder_x
      - .offset:         76
        .size:           2
        .value_kind:     hidden_remainder_y
      - .offset:         78
        .size:           2
        .value_kind:     hidden_remainder_z
      - .offset:         96
        .size:           8
        .value_kind:     hidden_global_offset_x
      - .offset:         104
        .size:           8
        .value_kind:     hidden_global_offset_y
      - .offset:         112
        .size:           8
        .value_kind:     hidden_global_offset_z
      - .offset:         120
        .size:           2
        .value_kind:     hidden_grid_dims
    .group_segment_fixed_size: 0
    .kernarg_segment_align: 8
    .kernarg_segment_size: 312
    .language:       OpenCL C
    .language_version:
      - 2
      - 0
    .max_flat_workgroup_size: 1024
    .name:           _ZN2at6native12_GLOBAL__N_121reflection_pad1d_flatIhEEvPKT_PS3_lllll
    .private_segment_fixed_size: 0
    .sgpr_count:     81
    .sgpr_spill_count: 0
    .symbol:         _ZN2at6native12_GLOBAL__N_121reflection_pad1d_flatIhEEvPKT_PS3_lllll.kd
    .uniform_work_group_size: 1
    .uses_dynamic_stack: false
    .vgpr_count:     43
    .vgpr_spill_count: 0
    .wavefront_size: 64
  - .agpr_count:     0
    .args:
      - .address_space:  global
        .offset:         0
        .size:           8
        .value_kind:     global_buffer
      - .address_space:  global
        .offset:         8
        .size:           8
        .value_kind:     global_buffer
      - .offset:         16
        .size:           8
        .value_kind:     by_value
      - .offset:         24
        .size:           8
        .value_kind:     by_value
      - .offset:         32
        .size:           8
        .value_kind:     by_value
      - .offset:         40
        .size:           4
        .value_kind:     hidden_block_count_x
      - .offset:         44
        .size:           4
        .value_kind:     hidden_block_count_y
      - .offset:         48
        .size:           4
        .value_kind:     hidden_block_count_z
      - .offset:         52
        .size:           2
        .value_kind:     hidden_group_size_x
      - .offset:         54
        .size:           2
        .value_kind:     hidden_group_size_y
      - .offset:         56
        .size:           2
        .value_kind:     hidden_group_size_z
      - .offset:         58
        .size:           2
        .value_kind:     hidden_remainder_x
      - .offset:         60
        .size:           2
        .value_kind:     hidden_remainder_y
      - .offset:         62
        .size:           2
        .value_kind:     hidden_remainder_z
      - .offset:         80
        .size:           8
        .value_kind:     hidden_global_offset_x
      - .offset:         88
        .size:           8
        .value_kind:     hidden_global_offset_y
      - .offset:         96
        .size:           8
        .value_kind:     hidden_global_offset_z
      - .offset:         104
        .size:           2
        .value_kind:     hidden_grid_dims
    .group_segment_fixed_size: 0
    .kernarg_segment_align: 8
    .kernarg_segment_size: 296
    .language:       OpenCL C
    .language_version:
      - 2
      - 0
    .max_flat_workgroup_size: 1024
    .name:           _ZN2at6native12_GLOBAL__N_127reflection_pad1d_out_kernelIaEEvPKT_PS3_lll
    .private_segment_fixed_size: 0
    .sgpr_count:     24
    .sgpr_spill_count: 0
    .symbol:         _ZN2at6native12_GLOBAL__N_127reflection_pad1d_out_kernelIaEEvPKT_PS3_lll.kd
    .uniform_work_group_size: 1
    .uses_dynamic_stack: false
    .vgpr_count:     7
    .vgpr_spill_count: 0
    .wavefront_size: 64
  - .agpr_count:     0
    .args:
      - .actual_access:  read_only
        .address_space:  global
        .offset:         0
        .size:           8
        .value_kind:     global_buffer
      - .actual_access:  write_only
        .address_space:  global
        .offset:         8
        .size:           8
        .value_kind:     global_buffer
      - .offset:         16
        .size:           8
        .value_kind:     by_value
      - .offset:         24
        .size:           8
        .value_kind:     by_value
      - .offset:         32
        .size:           8
        .value_kind:     by_value
      - .offset:         40
        .size:           8
        .value_kind:     by_value
      - .offset:         48
        .size:           8
        .value_kind:     by_value
      - .offset:         56
        .size:           4
        .value_kind:     hidden_block_count_x
      - .offset:         60
        .size:           4
        .value_kind:     hidden_block_count_y
      - .offset:         64
        .size:           4
        .value_kind:     hidden_block_count_z
      - .offset:         68
        .size:           2
        .value_kind:     hidden_group_size_x
      - .offset:         70
        .size:           2
        .value_kind:     hidden_group_size_y
      - .offset:         72
        .size:           2
        .value_kind:     hidden_group_size_z
      - .offset:         74
        .size:           2
        .value_kind:     hidden_remainder_x
      - .offset:         76
        .size:           2
        .value_kind:     hidden_remainder_y
      - .offset:         78
        .size:           2
        .value_kind:     hidden_remainder_z
      - .offset:         96
        .size:           8
        .value_kind:     hidden_global_offset_x
      - .offset:         104
        .size:           8
        .value_kind:     hidden_global_offset_y
      - .offset:         112
        .size:           8
        .value_kind:     hidden_global_offset_z
      - .offset:         120
        .size:           2
        .value_kind:     hidden_grid_dims
    .group_segment_fixed_size: 0
    .kernarg_segment_align: 8
    .kernarg_segment_size: 312
    .language:       OpenCL C
    .language_version:
      - 2
      - 0
    .max_flat_workgroup_size: 1024
    .name:           _ZN2at6native12_GLOBAL__N_121reflection_pad1d_flatIaEEvPKT_PS3_lllll
    .private_segment_fixed_size: 0
    .sgpr_count:     81
    .sgpr_spill_count: 0
    .symbol:         _ZN2at6native12_GLOBAL__N_121reflection_pad1d_flatIaEEvPKT_PS3_lllll.kd
    .uniform_work_group_size: 1
    .uses_dynamic_stack: false
    .vgpr_count:     43
    .vgpr_spill_count: 0
    .wavefront_size: 64
  - .agpr_count:     0
    .args:
      - .address_space:  global
        .offset:         0
        .size:           8
        .value_kind:     global_buffer
      - .address_space:  global
        .offset:         8
        .size:           8
        .value_kind:     global_buffer
      - .offset:         16
        .size:           8
        .value_kind:     by_value
      - .offset:         24
        .size:           8
        .value_kind:     by_value
      - .offset:         32
        .size:           8
        .value_kind:     by_value
      - .offset:         40
        .size:           4
        .value_kind:     hidden_block_count_x
      - .offset:         44
        .size:           4
        .value_kind:     hidden_block_count_y
      - .offset:         48
        .size:           4
        .value_kind:     hidden_block_count_z
      - .offset:         52
        .size:           2
        .value_kind:     hidden_group_size_x
      - .offset:         54
        .size:           2
        .value_kind:     hidden_group_size_y
      - .offset:         56
        .size:           2
        .value_kind:     hidden_group_size_z
      - .offset:         58
        .size:           2
        .value_kind:     hidden_remainder_x
      - .offset:         60
        .size:           2
        .value_kind:     hidden_remainder_y
      - .offset:         62
        .size:           2
        .value_kind:     hidden_remainder_z
      - .offset:         80
        .size:           8
        .value_kind:     hidden_global_offset_x
      - .offset:         88
        .size:           8
        .value_kind:     hidden_global_offset_y
      - .offset:         96
        .size:           8
        .value_kind:     hidden_global_offset_z
      - .offset:         104
        .size:           2
        .value_kind:     hidden_grid_dims
    .group_segment_fixed_size: 0
    .kernarg_segment_align: 8
    .kernarg_segment_size: 296
    .language:       OpenCL C
    .language_version:
      - 2
      - 0
    .max_flat_workgroup_size: 1024
    .name:           _ZN2at6native12_GLOBAL__N_127reflection_pad1d_out_kernelIiEEvPKT_PS3_lll
    .private_segment_fixed_size: 0
    .sgpr_count:     24
    .sgpr_spill_count: 0
    .symbol:         _ZN2at6native12_GLOBAL__N_127reflection_pad1d_out_kernelIiEEvPKT_PS3_lll.kd
    .uniform_work_group_size: 1
    .uses_dynamic_stack: false
    .vgpr_count:     8
    .vgpr_spill_count: 0
    .wavefront_size: 64
  - .agpr_count:     0
    .args:
      - .actual_access:  read_only
        .address_space:  global
        .offset:         0
        .size:           8
        .value_kind:     global_buffer
      - .actual_access:  write_only
        .address_space:  global
        .offset:         8
        .size:           8
        .value_kind:     global_buffer
      - .offset:         16
        .size:           8
        .value_kind:     by_value
      - .offset:         24
        .size:           8
        .value_kind:     by_value
      - .offset:         32
        .size:           8
        .value_kind:     by_value
      - .offset:         40
        .size:           8
        .value_kind:     by_value
      - .offset:         48
        .size:           8
        .value_kind:     by_value
      - .offset:         56
        .size:           4
        .value_kind:     hidden_block_count_x
      - .offset:         60
        .size:           4
        .value_kind:     hidden_block_count_y
      - .offset:         64
        .size:           4
        .value_kind:     hidden_block_count_z
      - .offset:         68
        .size:           2
        .value_kind:     hidden_group_size_x
      - .offset:         70
        .size:           2
        .value_kind:     hidden_group_size_y
      - .offset:         72
        .size:           2
        .value_kind:     hidden_group_size_z
      - .offset:         74
        .size:           2
        .value_kind:     hidden_remainder_x
      - .offset:         76
        .size:           2
        .value_kind:     hidden_remainder_y
      - .offset:         78
        .size:           2
        .value_kind:     hidden_remainder_z
      - .offset:         96
        .size:           8
        .value_kind:     hidden_global_offset_x
      - .offset:         104
        .size:           8
        .value_kind:     hidden_global_offset_y
      - .offset:         112
        .size:           8
        .value_kind:     hidden_global_offset_z
      - .offset:         120
        .size:           2
        .value_kind:     hidden_grid_dims
    .group_segment_fixed_size: 0
    .kernarg_segment_align: 8
    .kernarg_segment_size: 312
    .language:       OpenCL C
    .language_version:
      - 2
      - 0
    .max_flat_workgroup_size: 1024
    .name:           _ZN2at6native12_GLOBAL__N_121reflection_pad1d_flatIiEEvPKT_PS3_lllll
    .private_segment_fixed_size: 0
    .sgpr_count:     61
    .sgpr_spill_count: 0
    .symbol:         _ZN2at6native12_GLOBAL__N_121reflection_pad1d_flatIiEEvPKT_PS3_lllll.kd
    .uniform_work_group_size: 1
    .uses_dynamic_stack: false
    .vgpr_count:     34
    .vgpr_spill_count: 0
    .wavefront_size: 64
  - .agpr_count:     0
    .args:
      - .address_space:  global
        .offset:         0
        .size:           8
        .value_kind:     global_buffer
      - .address_space:  global
        .offset:         8
        .size:           8
        .value_kind:     global_buffer
      - .offset:         16
        .size:           8
        .value_kind:     by_value
      - .offset:         24
        .size:           8
        .value_kind:     by_value
      - .offset:         32
        .size:           8
        .value_kind:     by_value
      - .offset:         40
        .size:           4
        .value_kind:     hidden_block_count_x
      - .offset:         44
        .size:           4
        .value_kind:     hidden_block_count_y
      - .offset:         48
        .size:           4
        .value_kind:     hidden_block_count_z
      - .offset:         52
        .size:           2
        .value_kind:     hidden_group_size_x
      - .offset:         54
        .size:           2
        .value_kind:     hidden_group_size_y
      - .offset:         56
        .size:           2
        .value_kind:     hidden_group_size_z
      - .offset:         58
        .size:           2
        .value_kind:     hidden_remainder_x
      - .offset:         60
        .size:           2
        .value_kind:     hidden_remainder_y
      - .offset:         62
        .size:           2
        .value_kind:     hidden_remainder_z
      - .offset:         80
        .size:           8
        .value_kind:     hidden_global_offset_x
      - .offset:         88
        .size:           8
        .value_kind:     hidden_global_offset_y
      - .offset:         96
        .size:           8
        .value_kind:     hidden_global_offset_z
      - .offset:         104
        .size:           2
        .value_kind:     hidden_grid_dims
    .group_segment_fixed_size: 0
    .kernarg_segment_align: 8
    .kernarg_segment_size: 296
    .language:       OpenCL C
    .language_version:
      - 2
      - 0
    .max_flat_workgroup_size: 1024
    .name:           _ZN2at6native12_GLOBAL__N_127reflection_pad1d_out_kernelIlEEvPKT_PS3_lll
    .private_segment_fixed_size: 0
    .sgpr_count:     24
    .sgpr_spill_count: 0
    .symbol:         _ZN2at6native12_GLOBAL__N_127reflection_pad1d_out_kernelIlEEvPKT_PS3_lll.kd
    .uniform_work_group_size: 1
    .uses_dynamic_stack: false
    .vgpr_count:     8
    .vgpr_spill_count: 0
    .wavefront_size: 64
  - .agpr_count:     0
    .args:
      - .actual_access:  read_only
        .address_space:  global
        .offset:         0
        .size:           8
        .value_kind:     global_buffer
      - .actual_access:  write_only
        .address_space:  global
        .offset:         8
        .size:           8
        .value_kind:     global_buffer
      - .offset:         16
        .size:           8
        .value_kind:     by_value
      - .offset:         24
        .size:           8
        .value_kind:     by_value
      - .offset:         32
        .size:           8
        .value_kind:     by_value
      - .offset:         40
        .size:           8
        .value_kind:     by_value
      - .offset:         48
        .size:           8
        .value_kind:     by_value
      - .offset:         56
        .size:           4
        .value_kind:     hidden_block_count_x
      - .offset:         60
        .size:           4
        .value_kind:     hidden_block_count_y
      - .offset:         64
        .size:           4
        .value_kind:     hidden_block_count_z
      - .offset:         68
        .size:           2
        .value_kind:     hidden_group_size_x
      - .offset:         70
        .size:           2
        .value_kind:     hidden_group_size_y
      - .offset:         72
        .size:           2
        .value_kind:     hidden_group_size_z
      - .offset:         74
        .size:           2
        .value_kind:     hidden_remainder_x
      - .offset:         76
        .size:           2
        .value_kind:     hidden_remainder_y
      - .offset:         78
        .size:           2
        .value_kind:     hidden_remainder_z
      - .offset:         96
        .size:           8
        .value_kind:     hidden_global_offset_x
      - .offset:         104
        .size:           8
        .value_kind:     hidden_global_offset_y
      - .offset:         112
        .size:           8
        .value_kind:     hidden_global_offset_z
      - .offset:         120
        .size:           2
        .value_kind:     hidden_grid_dims
    .group_segment_fixed_size: 0
    .kernarg_segment_align: 8
    .kernarg_segment_size: 312
    .language:       OpenCL C
    .language_version:
      - 2
      - 0
    .max_flat_workgroup_size: 1024
    .name:           _ZN2at6native12_GLOBAL__N_121reflection_pad1d_flatIlEEvPKT_PS3_lllll
    .private_segment_fixed_size: 0
    .sgpr_count:     36
    .sgpr_spill_count: 0
    .symbol:         _ZN2at6native12_GLOBAL__N_121reflection_pad1d_flatIlEEvPKT_PS3_lllll.kd
    .uniform_work_group_size: 1
    .uses_dynamic_stack: false
    .vgpr_count:     19
    .vgpr_spill_count: 0
    .wavefront_size: 64
  - .agpr_count:     0
    .args:
      - .address_space:  global
        .offset:         0
        .size:           8
        .value_kind:     global_buffer
      - .address_space:  global
        .offset:         8
        .size:           8
        .value_kind:     global_buffer
      - .offset:         16
        .size:           8
        .value_kind:     by_value
      - .offset:         24
        .size:           8
        .value_kind:     by_value
      - .offset:         32
        .size:           8
        .value_kind:     by_value
      - .offset:         40
        .size:           4
        .value_kind:     hidden_block_count_x
      - .offset:         44
        .size:           4
        .value_kind:     hidden_block_count_y
      - .offset:         48
        .size:           4
        .value_kind:     hidden_block_count_z
      - .offset:         52
        .size:           2
        .value_kind:     hidden_group_size_x
      - .offset:         54
        .size:           2
        .value_kind:     hidden_group_size_y
      - .offset:         56
        .size:           2
        .value_kind:     hidden_group_size_z
      - .offset:         58
        .size:           2
        .value_kind:     hidden_remainder_x
      - .offset:         60
        .size:           2
        .value_kind:     hidden_remainder_y
      - .offset:         62
        .size:           2
        .value_kind:     hidden_remainder_z
      - .offset:         80
        .size:           8
        .value_kind:     hidden_global_offset_x
      - .offset:         88
        .size:           8
        .value_kind:     hidden_global_offset_y
      - .offset:         96
        .size:           8
        .value_kind:     hidden_global_offset_z
      - .offset:         104
        .size:           2
        .value_kind:     hidden_grid_dims
    .group_segment_fixed_size: 0
    .kernarg_segment_align: 8
    .kernarg_segment_size: 296
    .language:       OpenCL C
    .language_version:
      - 2
      - 0
    .max_flat_workgroup_size: 1024
    .name:           _ZN2at6native12_GLOBAL__N_127reflection_pad1d_out_kernelIsEEvPKT_PS3_lll
    .private_segment_fixed_size: 0
    .sgpr_count:     24
    .sgpr_spill_count: 0
    .symbol:         _ZN2at6native12_GLOBAL__N_127reflection_pad1d_out_kernelIsEEvPKT_PS3_lll.kd
    .uniform_work_group_size: 1
    .uses_dynamic_stack: false
    .vgpr_count:     8
    .vgpr_spill_count: 0
    .wavefront_size: 64
  - .agpr_count:     0
    .args:
      - .actual_access:  read_only
        .address_space:  global
        .offset:         0
        .size:           8
        .value_kind:     global_buffer
      - .actual_access:  write_only
        .address_space:  global
        .offset:         8
        .size:           8
        .value_kind:     global_buffer
      - .offset:         16
        .size:           8
        .value_kind:     by_value
      - .offset:         24
        .size:           8
        .value_kind:     by_value
      - .offset:         32
        .size:           8
        .value_kind:     by_value
      - .offset:         40
        .size:           8
        .value_kind:     by_value
      - .offset:         48
        .size:           8
        .value_kind:     by_value
      - .offset:         56
        .size:           4
        .value_kind:     hidden_block_count_x
      - .offset:         60
        .size:           4
        .value_kind:     hidden_block_count_y
      - .offset:         64
        .size:           4
        .value_kind:     hidden_block_count_z
      - .offset:         68
        .size:           2
        .value_kind:     hidden_group_size_x
      - .offset:         70
        .size:           2
        .value_kind:     hidden_group_size_y
      - .offset:         72
        .size:           2
        .value_kind:     hidden_group_size_z
      - .offset:         74
        .size:           2
        .value_kind:     hidden_remainder_x
      - .offset:         76
        .size:           2
        .value_kind:     hidden_remainder_y
      - .offset:         78
        .size:           2
        .value_kind:     hidden_remainder_z
      - .offset:         96
        .size:           8
        .value_kind:     hidden_global_offset_x
      - .offset:         104
        .size:           8
        .value_kind:     hidden_global_offset_y
      - .offset:         112
        .size:           8
        .value_kind:     hidden_global_offset_z
      - .offset:         120
        .size:           2
        .value_kind:     hidden_grid_dims
    .group_segment_fixed_size: 0
    .kernarg_segment_align: 8
    .kernarg_segment_size: 312
    .language:       OpenCL C
    .language_version:
      - 2
      - 0
    .max_flat_workgroup_size: 1024
    .name:           _ZN2at6native12_GLOBAL__N_121reflection_pad1d_flatIsEEvPKT_PS3_lllll
    .private_segment_fixed_size: 0
    .sgpr_count:     71
    .sgpr_spill_count: 0
    .symbol:         _ZN2at6native12_GLOBAL__N_121reflection_pad1d_flatIsEEvPKT_PS3_lllll.kd
    .uniform_work_group_size: 1
    .uses_dynamic_stack: false
    .vgpr_count:     52
    .vgpr_spill_count: 0
    .wavefront_size: 64
  - .agpr_count:     0
    .args:
      - .address_space:  global
        .offset:         0
        .size:           8
        .value_kind:     global_buffer
      - .address_space:  global
        .offset:         8
        .size:           8
        .value_kind:     global_buffer
      - .offset:         16
        .size:           8
        .value_kind:     by_value
      - .offset:         24
        .size:           8
        .value_kind:     by_value
      - .offset:         32
        .size:           8
        .value_kind:     by_value
      - .offset:         40
        .size:           4
        .value_kind:     hidden_block_count_x
      - .offset:         44
        .size:           4
        .value_kind:     hidden_block_count_y
      - .offset:         48
        .size:           4
        .value_kind:     hidden_block_count_z
      - .offset:         52
        .size:           2
        .value_kind:     hidden_group_size_x
      - .offset:         54
        .size:           2
        .value_kind:     hidden_group_size_y
      - .offset:         56
        .size:           2
        .value_kind:     hidden_group_size_z
      - .offset:         58
        .size:           2
        .value_kind:     hidden_remainder_x
      - .offset:         60
        .size:           2
        .value_kind:     hidden_remainder_y
      - .offset:         62
        .size:           2
        .value_kind:     hidden_remainder_z
      - .offset:         80
        .size:           8
        .value_kind:     hidden_global_offset_x
      - .offset:         88
        .size:           8
        .value_kind:     hidden_global_offset_y
      - .offset:         96
        .size:           8
        .value_kind:     hidden_global_offset_z
      - .offset:         104
        .size:           2
        .value_kind:     hidden_grid_dims
    .group_segment_fixed_size: 0
    .kernarg_segment_align: 8
    .kernarg_segment_size: 296
    .language:       OpenCL C
    .language_version:
      - 2
      - 0
    .max_flat_workgroup_size: 1024
    .name:           _ZN2at6native12_GLOBAL__N_127reflection_pad1d_out_kernelIdEEvPKT_PS3_lll
    .private_segment_fixed_size: 0
    .sgpr_count:     24
    .sgpr_spill_count: 0
    .symbol:         _ZN2at6native12_GLOBAL__N_127reflection_pad1d_out_kernelIdEEvPKT_PS3_lll.kd
    .uniform_work_group_size: 1
    .uses_dynamic_stack: false
    .vgpr_count:     8
    .vgpr_spill_count: 0
    .wavefront_size: 64
  - .agpr_count:     0
    .args:
      - .actual_access:  read_only
        .address_space:  global
        .offset:         0
        .size:           8
        .value_kind:     global_buffer
      - .actual_access:  write_only
        .address_space:  global
        .offset:         8
        .size:           8
        .value_kind:     global_buffer
      - .offset:         16
        .size:           8
        .value_kind:     by_value
      - .offset:         24
        .size:           8
        .value_kind:     by_value
      - .offset:         32
        .size:           8
        .value_kind:     by_value
      - .offset:         40
        .size:           8
        .value_kind:     by_value
      - .offset:         48
        .size:           8
        .value_kind:     by_value
      - .offset:         56
        .size:           4
        .value_kind:     hidden_block_count_x
      - .offset:         60
        .size:           4
        .value_kind:     hidden_block_count_y
      - .offset:         64
        .size:           4
        .value_kind:     hidden_block_count_z
      - .offset:         68
        .size:           2
        .value_kind:     hidden_group_size_x
      - .offset:         70
        .size:           2
        .value_kind:     hidden_group_size_y
      - .offset:         72
        .size:           2
        .value_kind:     hidden_group_size_z
      - .offset:         74
        .size:           2
        .value_kind:     hidden_remainder_x
      - .offset:         76
        .size:           2
        .value_kind:     hidden_remainder_y
      - .offset:         78
        .size:           2
        .value_kind:     hidden_remainder_z
      - .offset:         96
        .size:           8
        .value_kind:     hidden_global_offset_x
      - .offset:         104
        .size:           8
        .value_kind:     hidden_global_offset_y
      - .offset:         112
        .size:           8
        .value_kind:     hidden_global_offset_z
      - .offset:         120
        .size:           2
        .value_kind:     hidden_grid_dims
    .group_segment_fixed_size: 0
    .kernarg_segment_align: 8
    .kernarg_segment_size: 312
    .language:       OpenCL C
    .language_version:
      - 2
      - 0
    .max_flat_workgroup_size: 1024
    .name:           _ZN2at6native12_GLOBAL__N_121reflection_pad1d_flatIdEEvPKT_PS3_lllll
    .private_segment_fixed_size: 0
    .sgpr_count:     36
    .sgpr_spill_count: 0
    .symbol:         _ZN2at6native12_GLOBAL__N_121reflection_pad1d_flatIdEEvPKT_PS3_lllll.kd
    .uniform_work_group_size: 1
    .uses_dynamic_stack: false
    .vgpr_count:     19
    .vgpr_spill_count: 0
    .wavefront_size: 64
  - .agpr_count:     0
    .args:
      - .address_space:  global
        .offset:         0
        .size:           8
        .value_kind:     global_buffer
      - .address_space:  global
        .offset:         8
        .size:           8
        .value_kind:     global_buffer
      - .offset:         16
        .size:           8
        .value_kind:     by_value
      - .offset:         24
        .size:           8
        .value_kind:     by_value
      - .offset:         32
        .size:           8
        .value_kind:     by_value
      - .offset:         40
        .size:           4
        .value_kind:     hidden_block_count_x
      - .offset:         44
        .size:           4
        .value_kind:     hidden_block_count_y
      - .offset:         48
        .size:           4
        .value_kind:     hidden_block_count_z
      - .offset:         52
        .size:           2
        .value_kind:     hidden_group_size_x
      - .offset:         54
        .size:           2
        .value_kind:     hidden_group_size_y
      - .offset:         56
        .size:           2
        .value_kind:     hidden_group_size_z
      - .offset:         58
        .size:           2
        .value_kind:     hidden_remainder_x
      - .offset:         60
        .size:           2
        .value_kind:     hidden_remainder_y
      - .offset:         62
        .size:           2
        .value_kind:     hidden_remainder_z
      - .offset:         80
        .size:           8
        .value_kind:     hidden_global_offset_x
      - .offset:         88
        .size:           8
        .value_kind:     hidden_global_offset_y
      - .offset:         96
        .size:           8
        .value_kind:     hidden_global_offset_z
      - .offset:         104
        .size:           2
        .value_kind:     hidden_grid_dims
    .group_segment_fixed_size: 0
    .kernarg_segment_align: 8
    .kernarg_segment_size: 296
    .language:       OpenCL C
    .language_version:
      - 2
      - 0
    .max_flat_workgroup_size: 1024
    .name:           _ZN2at6native12_GLOBAL__N_127reflection_pad1d_out_kernelIfEEvPKT_PS3_lll
    .private_segment_fixed_size: 0
    .sgpr_count:     24
    .sgpr_spill_count: 0
    .symbol:         _ZN2at6native12_GLOBAL__N_127reflection_pad1d_out_kernelIfEEvPKT_PS3_lll.kd
    .uniform_work_group_size: 1
    .uses_dynamic_stack: false
    .vgpr_count:     8
    .vgpr_spill_count: 0
    .wavefront_size: 64
  - .agpr_count:     0
    .args:
      - .actual_access:  read_only
        .address_space:  global
        .offset:         0
        .size:           8
        .value_kind:     global_buffer
      - .actual_access:  write_only
        .address_space:  global
        .offset:         8
        .size:           8
        .value_kind:     global_buffer
      - .offset:         16
        .size:           8
        .value_kind:     by_value
      - .offset:         24
        .size:           8
        .value_kind:     by_value
      - .offset:         32
        .size:           8
        .value_kind:     by_value
      - .offset:         40
        .size:           8
        .value_kind:     by_value
      - .offset:         48
        .size:           8
        .value_kind:     by_value
      - .offset:         56
        .size:           4
        .value_kind:     hidden_block_count_x
      - .offset:         60
        .size:           4
        .value_kind:     hidden_block_count_y
      - .offset:         64
        .size:           4
        .value_kind:     hidden_block_count_z
      - .offset:         68
        .size:           2
        .value_kind:     hidden_group_size_x
      - .offset:         70
        .size:           2
        .value_kind:     hidden_group_size_y
      - .offset:         72
        .size:           2
        .value_kind:     hidden_group_size_z
      - .offset:         74
        .size:           2
        .value_kind:     hidden_remainder_x
      - .offset:         76
        .size:           2
        .value_kind:     hidden_remainder_y
      - .offset:         78
        .size:           2
        .value_kind:     hidden_remainder_z
      - .offset:         96
        .size:           8
        .value_kind:     hidden_global_offset_x
      - .offset:         104
        .size:           8
        .value_kind:     hidden_global_offset_y
      - .offset:         112
        .size:           8
        .value_kind:     hidden_global_offset_z
      - .offset:         120
        .size:           2
        .value_kind:     hidden_grid_dims
    .group_segment_fixed_size: 0
    .kernarg_segment_align: 8
    .kernarg_segment_size: 312
    .language:       OpenCL C
    .language_version:
      - 2
      - 0
    .max_flat_workgroup_size: 1024
    .name:           _ZN2at6native12_GLOBAL__N_121reflection_pad1d_flatIfEEvPKT_PS3_lllll
    .private_segment_fixed_size: 0
    .sgpr_count:     61
    .sgpr_spill_count: 0
    .symbol:         _ZN2at6native12_GLOBAL__N_121reflection_pad1d_flatIfEEvPKT_PS3_lllll.kd
    .uniform_work_group_size: 1
    .uses_dynamic_stack: false
    .vgpr_count:     34
    .vgpr_spill_count: 0
    .wavefront_size: 64
  - .agpr_count:     0
    .args:
      - .address_space:  global
        .offset:         0
        .size:           8
        .value_kind:     global_buffer
      - .address_space:  global
        .offset:         8
        .size:           8
        .value_kind:     global_buffer
      - .offset:         16
        .size:           8
        .value_kind:     by_value
      - .offset:         24
        .size:           8
        .value_kind:     by_value
      - .offset:         32
        .size:           8
        .value_kind:     by_value
      - .offset:         40
        .size:           4
        .value_kind:     hidden_block_count_x
      - .offset:         44
        .size:           4
        .value_kind:     hidden_block_count_y
      - .offset:         48
        .size:           4
        .value_kind:     hidden_block_count_z
      - .offset:         52
        .size:           2
        .value_kind:     hidden_group_size_x
      - .offset:         54
        .size:           2
        .value_kind:     hidden_group_size_y
      - .offset:         56
        .size:           2
        .value_kind:     hidden_group_size_z
      - .offset:         58
        .size:           2
        .value_kind:     hidden_remainder_x
      - .offset:         60
        .size:           2
        .value_kind:     hidden_remainder_y
      - .offset:         62
        .size:           2
        .value_kind:     hidden_remainder_z
      - .offset:         80
        .size:           8
        .value_kind:     hidden_global_offset_x
      - .offset:         88
        .size:           8
        .value_kind:     hidden_global_offset_y
      - .offset:         96
        .size:           8
        .value_kind:     hidden_global_offset_z
      - .offset:         104
        .size:           2
        .value_kind:     hidden_grid_dims
    .group_segment_fixed_size: 0
    .kernarg_segment_align: 8
    .kernarg_segment_size: 296
    .language:       OpenCL C
    .language_version:
      - 2
      - 0
    .max_flat_workgroup_size: 1024
    .name:           _ZN2at6native12_GLOBAL__N_127reflection_pad1d_out_kernelIN3c107complexIdEEEEvPKT_PS6_lll
    .private_segment_fixed_size: 0
    .sgpr_count:     24
    .sgpr_spill_count: 0
    .symbol:         _ZN2at6native12_GLOBAL__N_127reflection_pad1d_out_kernelIN3c107complexIdEEEEvPKT_PS6_lll.kd
    .uniform_work_group_size: 1
    .uses_dynamic_stack: false
    .vgpr_count:     8
    .vgpr_spill_count: 0
    .wavefront_size: 64
  - .agpr_count:     0
    .args:
      - .actual_access:  read_only
        .address_space:  global
        .offset:         0
        .size:           8
        .value_kind:     global_buffer
      - .actual_access:  write_only
        .address_space:  global
        .offset:         8
        .size:           8
        .value_kind:     global_buffer
      - .offset:         16
        .size:           8
        .value_kind:     by_value
      - .offset:         24
        .size:           8
        .value_kind:     by_value
      - .offset:         32
        .size:           8
        .value_kind:     by_value
      - .offset:         40
        .size:           8
        .value_kind:     by_value
      - .offset:         48
        .size:           8
        .value_kind:     by_value
      - .offset:         56
        .size:           4
        .value_kind:     hidden_block_count_x
      - .offset:         60
        .size:           4
        .value_kind:     hidden_block_count_y
      - .offset:         64
        .size:           4
        .value_kind:     hidden_block_count_z
      - .offset:         68
        .size:           2
        .value_kind:     hidden_group_size_x
      - .offset:         70
        .size:           2
        .value_kind:     hidden_group_size_y
      - .offset:         72
        .size:           2
        .value_kind:     hidden_group_size_z
      - .offset:         74
        .size:           2
        .value_kind:     hidden_remainder_x
      - .offset:         76
        .size:           2
        .value_kind:     hidden_remainder_y
      - .offset:         78
        .size:           2
        .value_kind:     hidden_remainder_z
      - .offset:         96
        .size:           8
        .value_kind:     hidden_global_offset_x
      - .offset:         104
        .size:           8
        .value_kind:     hidden_global_offset_y
      - .offset:         112
        .size:           8
        .value_kind:     hidden_global_offset_z
      - .offset:         120
        .size:           2
        .value_kind:     hidden_grid_dims
    .group_segment_fixed_size: 0
    .kernarg_segment_align: 8
    .kernarg_segment_size: 312
    .language:       OpenCL C
    .language_version:
      - 2
      - 0
    .max_flat_workgroup_size: 1024
    .name:           _ZN2at6native12_GLOBAL__N_121reflection_pad1d_flatIN3c107complexIdEEEEvPKT_PS6_lllll
    .private_segment_fixed_size: 0
    .sgpr_count:     36
    .sgpr_spill_count: 0
    .symbol:         _ZN2at6native12_GLOBAL__N_121reflection_pad1d_flatIN3c107complexIdEEEEvPKT_PS6_lllll.kd
    .uniform_work_group_size: 1
    .uses_dynamic_stack: false
    .vgpr_count:     19
    .vgpr_spill_count: 0
    .wavefront_size: 64
  - .agpr_count:     0
    .args:
      - .address_space:  global
        .offset:         0
        .size:           8
        .value_kind:     global_buffer
      - .address_space:  global
        .offset:         8
        .size:           8
        .value_kind:     global_buffer
      - .offset:         16
        .size:           8
        .value_kind:     by_value
      - .offset:         24
        .size:           8
        .value_kind:     by_value
      - .offset:         32
        .size:           8
        .value_kind:     by_value
      - .offset:         40
        .size:           4
        .value_kind:     hidden_block_count_x
      - .offset:         44
        .size:           4
        .value_kind:     hidden_block_count_y
      - .offset:         48
        .size:           4
        .value_kind:     hidden_block_count_z
      - .offset:         52
        .size:           2
        .value_kind:     hidden_group_size_x
      - .offset:         54
        .size:           2
        .value_kind:     hidden_group_size_y
      - .offset:         56
        .size:           2
        .value_kind:     hidden_group_size_z
      - .offset:         58
        .size:           2
        .value_kind:     hidden_remainder_x
      - .offset:         60
        .size:           2
        .value_kind:     hidden_remainder_y
      - .offset:         62
        .size:           2
        .value_kind:     hidden_remainder_z
      - .offset:         80
        .size:           8
        .value_kind:     hidden_global_offset_x
      - .offset:         88
        .size:           8
        .value_kind:     hidden_global_offset_y
      - .offset:         96
        .size:           8
        .value_kind:     hidden_global_offset_z
      - .offset:         104
        .size:           2
        .value_kind:     hidden_grid_dims
    .group_segment_fixed_size: 0
    .kernarg_segment_align: 8
    .kernarg_segment_size: 296
    .language:       OpenCL C
    .language_version:
      - 2
      - 0
    .max_flat_workgroup_size: 1024
    .name:           _ZN2at6native12_GLOBAL__N_127reflection_pad1d_out_kernelIN3c107complexIfEEEEvPKT_PS6_lll
    .private_segment_fixed_size: 0
    .sgpr_count:     24
    .sgpr_spill_count: 0
    .symbol:         _ZN2at6native12_GLOBAL__N_127reflection_pad1d_out_kernelIN3c107complexIfEEEEvPKT_PS6_lll.kd
    .uniform_work_group_size: 1
    .uses_dynamic_stack: false
    .vgpr_count:     8
    .vgpr_spill_count: 0
    .wavefront_size: 64
  - .agpr_count:     0
    .args:
      - .actual_access:  read_only
        .address_space:  global
        .offset:         0
        .size:           8
        .value_kind:     global_buffer
      - .actual_access:  write_only
        .address_space:  global
        .offset:         8
        .size:           8
        .value_kind:     global_buffer
      - .offset:         16
        .size:           8
        .value_kind:     by_value
      - .offset:         24
        .size:           8
        .value_kind:     by_value
      - .offset:         32
        .size:           8
        .value_kind:     by_value
      - .offset:         40
        .size:           8
        .value_kind:     by_value
      - .offset:         48
        .size:           8
        .value_kind:     by_value
      - .offset:         56
        .size:           4
        .value_kind:     hidden_block_count_x
      - .offset:         60
        .size:           4
        .value_kind:     hidden_block_count_y
      - .offset:         64
        .size:           4
        .value_kind:     hidden_block_count_z
      - .offset:         68
        .size:           2
        .value_kind:     hidden_group_size_x
      - .offset:         70
        .size:           2
        .value_kind:     hidden_group_size_y
      - .offset:         72
        .size:           2
        .value_kind:     hidden_group_size_z
      - .offset:         74
        .size:           2
        .value_kind:     hidden_remainder_x
      - .offset:         76
        .size:           2
        .value_kind:     hidden_remainder_y
      - .offset:         78
        .size:           2
        .value_kind:     hidden_remainder_z
      - .offset:         96
        .size:           8
        .value_kind:     hidden_global_offset_x
      - .offset:         104
        .size:           8
        .value_kind:     hidden_global_offset_y
      - .offset:         112
        .size:           8
        .value_kind:     hidden_global_offset_z
      - .offset:         120
        .size:           2
        .value_kind:     hidden_grid_dims
    .group_segment_fixed_size: 0
    .kernarg_segment_align: 8
    .kernarg_segment_size: 312
    .language:       OpenCL C
    .language_version:
      - 2
      - 0
    .max_flat_workgroup_size: 1024
    .name:           _ZN2at6native12_GLOBAL__N_121reflection_pad1d_flatIN3c107complexIfEEEEvPKT_PS6_lllll
    .private_segment_fixed_size: 0
    .sgpr_count:     36
    .sgpr_spill_count: 0
    .symbol:         _ZN2at6native12_GLOBAL__N_121reflection_pad1d_flatIN3c107complexIfEEEEvPKT_PS6_lllll.kd
    .uniform_work_group_size: 1
    .uses_dynamic_stack: false
    .vgpr_count:     19
    .vgpr_spill_count: 0
    .wavefront_size: 64
  - .agpr_count:     0
    .args:
      - .address_space:  global
        .offset:         0
        .size:           8
        .value_kind:     global_buffer
      - .address_space:  global
        .offset:         8
        .size:           8
        .value_kind:     global_buffer
      - .offset:         16
        .size:           8
        .value_kind:     by_value
      - .offset:         24
        .size:           8
        .value_kind:     by_value
      - .offset:         32
        .size:           8
        .value_kind:     by_value
      - .offset:         40
        .size:           4
        .value_kind:     hidden_block_count_x
      - .offset:         44
        .size:           4
        .value_kind:     hidden_block_count_y
      - .offset:         48
        .size:           4
        .value_kind:     hidden_block_count_z
      - .offset:         52
        .size:           2
        .value_kind:     hidden_group_size_x
      - .offset:         54
        .size:           2
        .value_kind:     hidden_group_size_y
      - .offset:         56
        .size:           2
        .value_kind:     hidden_group_size_z
      - .offset:         58
        .size:           2
        .value_kind:     hidden_remainder_x
      - .offset:         60
        .size:           2
        .value_kind:     hidden_remainder_y
      - .offset:         62
        .size:           2
        .value_kind:     hidden_remainder_z
      - .offset:         80
        .size:           8
        .value_kind:     hidden_global_offset_x
      - .offset:         88
        .size:           8
        .value_kind:     hidden_global_offset_y
      - .offset:         96
        .size:           8
        .value_kind:     hidden_global_offset_z
      - .offset:         104
        .size:           2
        .value_kind:     hidden_grid_dims
    .group_segment_fixed_size: 0
    .kernarg_segment_align: 8
    .kernarg_segment_size: 296
    .language:       OpenCL C
    .language_version:
      - 2
      - 0
    .max_flat_workgroup_size: 1024
    .name:           _ZN2at6native12_GLOBAL__N_127reflection_pad1d_out_kernelIN3c104HalfEEEvPKT_PS5_lll
    .private_segment_fixed_size: 0
    .sgpr_count:     24
    .sgpr_spill_count: 0
    .symbol:         _ZN2at6native12_GLOBAL__N_127reflection_pad1d_out_kernelIN3c104HalfEEEvPKT_PS5_lll.kd
    .uniform_work_group_size: 1
    .uses_dynamic_stack: false
    .vgpr_count:     8
    .vgpr_spill_count: 0
    .wavefront_size: 64
  - .agpr_count:     0
    .args:
      - .actual_access:  read_only
        .address_space:  global
        .offset:         0
        .size:           8
        .value_kind:     global_buffer
      - .actual_access:  write_only
        .address_space:  global
        .offset:         8
        .size:           8
        .value_kind:     global_buffer
      - .offset:         16
        .size:           8
        .value_kind:     by_value
      - .offset:         24
        .size:           8
        .value_kind:     by_value
      - .offset:         32
        .size:           8
        .value_kind:     by_value
      - .offset:         40
        .size:           8
        .value_kind:     by_value
      - .offset:         48
        .size:           8
        .value_kind:     by_value
      - .offset:         56
        .size:           4
        .value_kind:     hidden_block_count_x
      - .offset:         60
        .size:           4
        .value_kind:     hidden_block_count_y
      - .offset:         64
        .size:           4
        .value_kind:     hidden_block_count_z
      - .offset:         68
        .size:           2
        .value_kind:     hidden_group_size_x
      - .offset:         70
        .size:           2
        .value_kind:     hidden_group_size_y
      - .offset:         72
        .size:           2
        .value_kind:     hidden_group_size_z
      - .offset:         74
        .size:           2
        .value_kind:     hidden_remainder_x
      - .offset:         76
        .size:           2
        .value_kind:     hidden_remainder_y
      - .offset:         78
        .size:           2
        .value_kind:     hidden_remainder_z
      - .offset:         96
        .size:           8
        .value_kind:     hidden_global_offset_x
      - .offset:         104
        .size:           8
        .value_kind:     hidden_global_offset_y
      - .offset:         112
        .size:           8
        .value_kind:     hidden_global_offset_z
      - .offset:         120
        .size:           2
        .value_kind:     hidden_grid_dims
    .group_segment_fixed_size: 0
    .kernarg_segment_align: 8
    .kernarg_segment_size: 312
    .language:       OpenCL C
    .language_version:
      - 2
      - 0
    .max_flat_workgroup_size: 1024
    .name:           _ZN2at6native12_GLOBAL__N_121reflection_pad1d_flatIN3c104HalfEEEvPKT_PS5_lllll
    .private_segment_fixed_size: 0
    .sgpr_count:     71
    .sgpr_spill_count: 0
    .symbol:         _ZN2at6native12_GLOBAL__N_121reflection_pad1d_flatIN3c104HalfEEEvPKT_PS5_lllll.kd
    .uniform_work_group_size: 1
    .uses_dynamic_stack: false
    .vgpr_count:     52
    .vgpr_spill_count: 0
    .wavefront_size: 64
  - .agpr_count:     0
    .args:
      - .address_space:  global
        .offset:         0
        .size:           8
        .value_kind:     global_buffer
      - .address_space:  global
        .offset:         8
        .size:           8
        .value_kind:     global_buffer
      - .offset:         16
        .size:           8
        .value_kind:     by_value
      - .offset:         24
        .size:           8
        .value_kind:     by_value
      - .offset:         32
        .size:           8
        .value_kind:     by_value
      - .offset:         40
        .size:           4
        .value_kind:     hidden_block_count_x
      - .offset:         44
        .size:           4
        .value_kind:     hidden_block_count_y
      - .offset:         48
        .size:           4
        .value_kind:     hidden_block_count_z
      - .offset:         52
        .size:           2
        .value_kind:     hidden_group_size_x
      - .offset:         54
        .size:           2
        .value_kind:     hidden_group_size_y
      - .offset:         56
        .size:           2
        .value_kind:     hidden_group_size_z
      - .offset:         58
        .size:           2
        .value_kind:     hidden_remainder_x
      - .offset:         60
        .size:           2
        .value_kind:     hidden_remainder_y
      - .offset:         62
        .size:           2
        .value_kind:     hidden_remainder_z
      - .offset:         80
        .size:           8
        .value_kind:     hidden_global_offset_x
      - .offset:         88
        .size:           8
        .value_kind:     hidden_global_offset_y
      - .offset:         96
        .size:           8
        .value_kind:     hidden_global_offset_z
      - .offset:         104
        .size:           2
        .value_kind:     hidden_grid_dims
    .group_segment_fixed_size: 0
    .kernarg_segment_align: 8
    .kernarg_segment_size: 296
    .language:       OpenCL C
    .language_version:
      - 2
      - 0
    .max_flat_workgroup_size: 1024
    .name:           _ZN2at6native12_GLOBAL__N_127reflection_pad1d_out_kernelIN3c108BFloat16EEEvPKT_PS5_lll
    .private_segment_fixed_size: 0
    .sgpr_count:     24
    .sgpr_spill_count: 0
    .symbol:         _ZN2at6native12_GLOBAL__N_127reflection_pad1d_out_kernelIN3c108BFloat16EEEvPKT_PS5_lll.kd
    .uniform_work_group_size: 1
    .uses_dynamic_stack: false
    .vgpr_count:     8
    .vgpr_spill_count: 0
    .wavefront_size: 64
  - .agpr_count:     0
    .args:
      - .actual_access:  read_only
        .address_space:  global
        .offset:         0
        .size:           8
        .value_kind:     global_buffer
      - .actual_access:  write_only
        .address_space:  global
        .offset:         8
        .size:           8
        .value_kind:     global_buffer
      - .offset:         16
        .size:           8
        .value_kind:     by_value
      - .offset:         24
        .size:           8
        .value_kind:     by_value
      - .offset:         32
        .size:           8
        .value_kind:     by_value
      - .offset:         40
        .size:           8
        .value_kind:     by_value
      - .offset:         48
        .size:           8
        .value_kind:     by_value
      - .offset:         56
        .size:           4
        .value_kind:     hidden_block_count_x
      - .offset:         60
        .size:           4
        .value_kind:     hidden_block_count_y
      - .offset:         64
        .size:           4
        .value_kind:     hidden_block_count_z
      - .offset:         68
        .size:           2
        .value_kind:     hidden_group_size_x
      - .offset:         70
        .size:           2
        .value_kind:     hidden_group_size_y
      - .offset:         72
        .size:           2
        .value_kind:     hidden_group_size_z
      - .offset:         74
        .size:           2
        .value_kind:     hidden_remainder_x
      - .offset:         76
        .size:           2
        .value_kind:     hidden_remainder_y
      - .offset:         78
        .size:           2
        .value_kind:     hidden_remainder_z
      - .offset:         96
        .size:           8
        .value_kind:     hidden_global_offset_x
      - .offset:         104
        .size:           8
        .value_kind:     hidden_global_offset_y
      - .offset:         112
        .size:           8
        .value_kind:     hidden_global_offset_z
      - .offset:         120
        .size:           2
        .value_kind:     hidden_grid_dims
    .group_segment_fixed_size: 0
    .kernarg_segment_align: 8
    .kernarg_segment_size: 312
    .language:       OpenCL C
    .language_version:
      - 2
      - 0
    .max_flat_workgroup_size: 1024
    .name:           _ZN2at6native12_GLOBAL__N_121reflection_pad1d_flatIN3c108BFloat16EEEvPKT_PS5_lllll
    .private_segment_fixed_size: 0
    .sgpr_count:     71
    .sgpr_spill_count: 0
    .symbol:         _ZN2at6native12_GLOBAL__N_121reflection_pad1d_flatIN3c108BFloat16EEEvPKT_PS5_lllll.kd
    .uniform_work_group_size: 1
    .uses_dynamic_stack: false
    .vgpr_count:     52
    .vgpr_spill_count: 0
    .wavefront_size: 64
  - .agpr_count:     0
    .args:
      - .address_space:  global
        .offset:         0
        .size:           8
        .value_kind:     global_buffer
      - .address_space:  global
        .offset:         8
        .size:           8
        .value_kind:     global_buffer
      - .offset:         16
        .size:           8
        .value_kind:     by_value
      - .offset:         24
        .size:           8
        .value_kind:     by_value
      - .offset:         32
        .size:           8
        .value_kind:     by_value
      - .offset:         40
        .size:           4
        .value_kind:     hidden_block_count_x
      - .offset:         44
        .size:           4
        .value_kind:     hidden_block_count_y
      - .offset:         48
        .size:           4
        .value_kind:     hidden_block_count_z
      - .offset:         52
        .size:           2
        .value_kind:     hidden_group_size_x
      - .offset:         54
        .size:           2
        .value_kind:     hidden_group_size_y
      - .offset:         56
        .size:           2
        .value_kind:     hidden_group_size_z
      - .offset:         58
        .size:           2
        .value_kind:     hidden_remainder_x
      - .offset:         60
        .size:           2
        .value_kind:     hidden_remainder_y
      - .offset:         62
        .size:           2
        .value_kind:     hidden_remainder_z
      - .offset:         80
        .size:           8
        .value_kind:     hidden_global_offset_x
      - .offset:         88
        .size:           8
        .value_kind:     hidden_global_offset_y
      - .offset:         96
        .size:           8
        .value_kind:     hidden_global_offset_z
      - .offset:         104
        .size:           2
        .value_kind:     hidden_grid_dims
    .group_segment_fixed_size: 0
    .kernarg_segment_align: 8
    .kernarg_segment_size: 296
    .language:       OpenCL C
    .language_version:
      - 2
      - 0
    .max_flat_workgroup_size: 1024
    .name:           _ZN2at6native12_GLOBAL__N_136reflection_pad1d_backward_out_kernelIdEEvPT_PKS3_lll
    .private_segment_fixed_size: 0
    .sgpr_count:     24
    .sgpr_spill_count: 0
    .symbol:         _ZN2at6native12_GLOBAL__N_136reflection_pad1d_backward_out_kernelIdEEvPT_PKS3_lll.kd
    .uniform_work_group_size: 1
    .uses_dynamic_stack: false
    .vgpr_count:     9
    .vgpr_spill_count: 0
    .wavefront_size: 64
  - .agpr_count:     0
    .args:
      - .address_space:  global
        .offset:         0
        .size:           8
        .value_kind:     global_buffer
      - .actual_access:  read_only
        .address_space:  global
        .offset:         8
        .size:           8
        .value_kind:     global_buffer
      - .offset:         16
        .size:           8
        .value_kind:     by_value
      - .offset:         24
        .size:           8
        .value_kind:     by_value
      - .offset:         32
        .size:           8
        .value_kind:     by_value
      - .offset:         40
        .size:           8
        .value_kind:     by_value
      - .offset:         48
        .size:           4
        .value_kind:     hidden_block_count_x
      - .offset:         52
        .size:           4
        .value_kind:     hidden_block_count_y
      - .offset:         56
        .size:           4
        .value_kind:     hidden_block_count_z
      - .offset:         60
        .size:           2
        .value_kind:     hidden_group_size_x
      - .offset:         62
        .size:           2
        .value_kind:     hidden_group_size_y
      - .offset:         64
        .size:           2
        .value_kind:     hidden_group_size_z
      - .offset:         66
        .size:           2
        .value_kind:     hidden_remainder_x
      - .offset:         68
        .size:           2
        .value_kind:     hidden_remainder_y
      - .offset:         70
        .size:           2
        .value_kind:     hidden_remainder_z
      - .offset:         88
        .size:           8
        .value_kind:     hidden_global_offset_x
      - .offset:         96
        .size:           8
        .value_kind:     hidden_global_offset_y
      - .offset:         104
        .size:           8
        .value_kind:     hidden_global_offset_z
      - .offset:         112
        .size:           2
        .value_kind:     hidden_grid_dims
    .group_segment_fixed_size: 0
    .kernarg_segment_align: 8
    .kernarg_segment_size: 304
    .language:       OpenCL C
    .language_version:
      - 2
      - 0
    .max_flat_workgroup_size: 1024
    .name:           _ZN2at6native12_GLOBAL__N_130reflection_pad1d_backward_flatIdEEvPT_PKS3_llll
    .private_segment_fixed_size: 0
    .sgpr_count:     36
    .sgpr_spill_count: 0
    .symbol:         _ZN2at6native12_GLOBAL__N_130reflection_pad1d_backward_flatIdEEvPT_PKS3_llll.kd
    .uniform_work_group_size: 1
    .uses_dynamic_stack: false
    .vgpr_count:     19
    .vgpr_spill_count: 0
    .wavefront_size: 64
  - .agpr_count:     0
    .args:
      - .address_space:  global
        .offset:         0
        .size:           8
        .value_kind:     global_buffer
      - .address_space:  global
        .offset:         8
        .size:           8
        .value_kind:     global_buffer
      - .offset:         16
        .size:           8
        .value_kind:     by_value
      - .offset:         24
        .size:           8
        .value_kind:     by_value
      - .offset:         32
        .size:           8
        .value_kind:     by_value
      - .offset:         40
        .size:           4
        .value_kind:     hidden_block_count_x
      - .offset:         44
        .size:           4
        .value_kind:     hidden_block_count_y
      - .offset:         48
        .size:           4
        .value_kind:     hidden_block_count_z
      - .offset:         52
        .size:           2
        .value_kind:     hidden_group_size_x
      - .offset:         54
        .size:           2
        .value_kind:     hidden_group_size_y
      - .offset:         56
        .size:           2
        .value_kind:     hidden_group_size_z
      - .offset:         58
        .size:           2
        .value_kind:     hidden_remainder_x
      - .offset:         60
        .size:           2
        .value_kind:     hidden_remainder_y
      - .offset:         62
        .size:           2
        .value_kind:     hidden_remainder_z
      - .offset:         80
        .size:           8
        .value_kind:     hidden_global_offset_x
      - .offset:         88
        .size:           8
        .value_kind:     hidden_global_offset_y
      - .offset:         96
        .size:           8
        .value_kind:     hidden_global_offset_z
      - .offset:         104
        .size:           2
        .value_kind:     hidden_grid_dims
    .group_segment_fixed_size: 0
    .kernarg_segment_align: 8
    .kernarg_segment_size: 296
    .language:       OpenCL C
    .language_version:
      - 2
      - 0
    .max_flat_workgroup_size: 1024
    .name:           _ZN2at6native12_GLOBAL__N_136reflection_pad1d_backward_out_kernelIfEEvPT_PKS3_lll
    .private_segment_fixed_size: 0
    .sgpr_count:     24
    .sgpr_spill_count: 0
    .symbol:         _ZN2at6native12_GLOBAL__N_136reflection_pad1d_backward_out_kernelIfEEvPT_PKS3_lll.kd
    .uniform_work_group_size: 1
    .uses_dynamic_stack: false
    .vgpr_count:     8
    .vgpr_spill_count: 0
    .wavefront_size: 64
  - .agpr_count:     0
    .args:
      - .address_space:  global
        .offset:         0
        .size:           8
        .value_kind:     global_buffer
      - .actual_access:  read_only
        .address_space:  global
        .offset:         8
        .size:           8
        .value_kind:     global_buffer
      - .offset:         16
        .size:           8
        .value_kind:     by_value
      - .offset:         24
        .size:           8
        .value_kind:     by_value
      - .offset:         32
        .size:           8
        .value_kind:     by_value
      - .offset:         40
        .size:           8
        .value_kind:     by_value
      - .offset:         48
        .size:           4
        .value_kind:     hidden_block_count_x
      - .offset:         52
        .size:           4
        .value_kind:     hidden_block_count_y
      - .offset:         56
        .size:           4
        .value_kind:     hidden_block_count_z
      - .offset:         60
        .size:           2
        .value_kind:     hidden_group_size_x
      - .offset:         62
        .size:           2
        .value_kind:     hidden_group_size_y
      - .offset:         64
        .size:           2
        .value_kind:     hidden_group_size_z
      - .offset:         66
        .size:           2
        .value_kind:     hidden_remainder_x
      - .offset:         68
        .size:           2
        .value_kind:     hidden_remainder_y
      - .offset:         70
        .size:           2
        .value_kind:     hidden_remainder_z
      - .offset:         88
        .size:           8
        .value_kind:     hidden_global_offset_x
      - .offset:         96
        .size:           8
        .value_kind:     hidden_global_offset_y
      - .offset:         104
        .size:           8
        .value_kind:     hidden_global_offset_z
      - .offset:         112
        .size:           2
        .value_kind:     hidden_grid_dims
    .group_segment_fixed_size: 0
    .kernarg_segment_align: 8
    .kernarg_segment_size: 304
    .language:       OpenCL C
    .language_version:
      - 2
      - 0
    .max_flat_workgroup_size: 1024
    .name:           _ZN2at6native12_GLOBAL__N_130reflection_pad1d_backward_flatIfEEvPT_PKS3_llll
    .private_segment_fixed_size: 0
    .sgpr_count:     36
    .sgpr_spill_count: 0
    .symbol:         _ZN2at6native12_GLOBAL__N_130reflection_pad1d_backward_flatIfEEvPT_PKS3_llll.kd
    .uniform_work_group_size: 1
    .uses_dynamic_stack: false
    .vgpr_count:     19
    .vgpr_spill_count: 0
    .wavefront_size: 64
  - .agpr_count:     0
    .args:
      - .address_space:  global
        .offset:         0
        .size:           8
        .value_kind:     global_buffer
      - .address_space:  global
        .offset:         8
        .size:           8
        .value_kind:     global_buffer
      - .offset:         16
        .size:           8
        .value_kind:     by_value
      - .offset:         24
        .size:           8
        .value_kind:     by_value
      - .offset:         32
        .size:           8
        .value_kind:     by_value
      - .offset:         40
        .size:           4
        .value_kind:     hidden_block_count_x
      - .offset:         44
        .size:           4
        .value_kind:     hidden_block_count_y
      - .offset:         48
        .size:           4
        .value_kind:     hidden_block_count_z
      - .offset:         52
        .size:           2
        .value_kind:     hidden_group_size_x
      - .offset:         54
        .size:           2
        .value_kind:     hidden_group_size_y
      - .offset:         56
        .size:           2
        .value_kind:     hidden_group_size_z
      - .offset:         58
        .size:           2
        .value_kind:     hidden_remainder_x
      - .offset:         60
        .size:           2
        .value_kind:     hidden_remainder_y
      - .offset:         62
        .size:           2
        .value_kind:     hidden_remainder_z
      - .offset:         80
        .size:           8
        .value_kind:     hidden_global_offset_x
      - .offset:         88
        .size:           8
        .value_kind:     hidden_global_offset_y
      - .offset:         96
        .size:           8
        .value_kind:     hidden_global_offset_z
      - .offset:         104
        .size:           2
        .value_kind:     hidden_grid_dims
    .group_segment_fixed_size: 0
    .kernarg_segment_align: 8
    .kernarg_segment_size: 296
    .language:       OpenCL C
    .language_version:
      - 2
      - 0
    .max_flat_workgroup_size: 1024
    .name:           _ZN2at6native12_GLOBAL__N_136reflection_pad1d_backward_out_kernelIN3c107complexIdEEEEvPT_PKS6_lll
    .private_segment_fixed_size: 0
    .sgpr_count:     24
    .sgpr_spill_count: 0
    .symbol:         _ZN2at6native12_GLOBAL__N_136reflection_pad1d_backward_out_kernelIN3c107complexIdEEEEvPT_PKS6_lll.kd
    .uniform_work_group_size: 1
    .uses_dynamic_stack: false
    .vgpr_count:     10
    .vgpr_spill_count: 0
    .wavefront_size: 64
  - .agpr_count:     0
    .args:
      - .address_space:  global
        .offset:         0
        .size:           8
        .value_kind:     global_buffer
      - .actual_access:  read_only
        .address_space:  global
        .offset:         8
        .size:           8
        .value_kind:     global_buffer
      - .offset:         16
        .size:           8
        .value_kind:     by_value
      - .offset:         24
        .size:           8
        .value_kind:     by_value
      - .offset:         32
        .size:           8
        .value_kind:     by_value
      - .offset:         40
        .size:           8
        .value_kind:     by_value
      - .offset:         48
        .size:           4
        .value_kind:     hidden_block_count_x
      - .offset:         52
        .size:           4
        .value_kind:     hidden_block_count_y
      - .offset:         56
        .size:           4
        .value_kind:     hidden_block_count_z
      - .offset:         60
        .size:           2
        .value_kind:     hidden_group_size_x
      - .offset:         62
        .size:           2
        .value_kind:     hidden_group_size_y
      - .offset:         64
        .size:           2
        .value_kind:     hidden_group_size_z
      - .offset:         66
        .size:           2
        .value_kind:     hidden_remainder_x
      - .offset:         68
        .size:           2
        .value_kind:     hidden_remainder_y
      - .offset:         70
        .size:           2
        .value_kind:     hidden_remainder_z
      - .offset:         88
        .size:           8
        .value_kind:     hidden_global_offset_x
      - .offset:         96
        .size:           8
        .value_kind:     hidden_global_offset_y
      - .offset:         104
        .size:           8
        .value_kind:     hidden_global_offset_z
      - .offset:         112
        .size:           2
        .value_kind:     hidden_grid_dims
    .group_segment_fixed_size: 0
    .kernarg_segment_align: 8
    .kernarg_segment_size: 304
    .language:       OpenCL C
    .language_version:
      - 2
      - 0
    .max_flat_workgroup_size: 1024
    .name:           _ZN2at6native12_GLOBAL__N_130reflection_pad1d_backward_flatIN3c107complexIdEEEEvPT_PKS6_llll
    .private_segment_fixed_size: 0
    .sgpr_count:     34
    .sgpr_spill_count: 0
    .symbol:         _ZN2at6native12_GLOBAL__N_130reflection_pad1d_backward_flatIN3c107complexIdEEEEvPT_PKS6_llll.kd
    .uniform_work_group_size: 1
    .uses_dynamic_stack: false
    .vgpr_count:     17
    .vgpr_spill_count: 0
    .wavefront_size: 64
  - .agpr_count:     0
    .args:
      - .address_space:  global
        .offset:         0
        .size:           8
        .value_kind:     global_buffer
      - .address_space:  global
        .offset:         8
        .size:           8
        .value_kind:     global_buffer
      - .offset:         16
        .size:           8
        .value_kind:     by_value
      - .offset:         24
        .size:           8
        .value_kind:     by_value
      - .offset:         32
        .size:           8
        .value_kind:     by_value
      - .offset:         40
        .size:           4
        .value_kind:     hidden_block_count_x
      - .offset:         44
        .size:           4
        .value_kind:     hidden_block_count_y
      - .offset:         48
        .size:           4
        .value_kind:     hidden_block_count_z
      - .offset:         52
        .size:           2
        .value_kind:     hidden_group_size_x
      - .offset:         54
        .size:           2
        .value_kind:     hidden_group_size_y
      - .offset:         56
        .size:           2
        .value_kind:     hidden_group_size_z
      - .offset:         58
        .size:           2
        .value_kind:     hidden_remainder_x
      - .offset:         60
        .size:           2
        .value_kind:     hidden_remainder_y
      - .offset:         62
        .size:           2
        .value_kind:     hidden_remainder_z
      - .offset:         80
        .size:           8
        .value_kind:     hidden_global_offset_x
      - .offset:         88
        .size:           8
        .value_kind:     hidden_global_offset_y
      - .offset:         96
        .size:           8
        .value_kind:     hidden_global_offset_z
      - .offset:         104
        .size:           2
        .value_kind:     hidden_grid_dims
    .group_segment_fixed_size: 0
    .kernarg_segment_align: 8
    .kernarg_segment_size: 296
    .language:       OpenCL C
    .language_version:
      - 2
      - 0
    .max_flat_workgroup_size: 1024
    .name:           _ZN2at6native12_GLOBAL__N_136reflection_pad1d_backward_out_kernelIN3c107complexIfEEEEvPT_PKS6_lll
    .private_segment_fixed_size: 0
    .sgpr_count:     24
    .sgpr_spill_count: 0
    .symbol:         _ZN2at6native12_GLOBAL__N_136reflection_pad1d_backward_out_kernelIN3c107complexIfEEEEvPT_PKS6_lll.kd
    .uniform_work_group_size: 1
    .uses_dynamic_stack: false
    .vgpr_count:     8
    .vgpr_spill_count: 0
    .wavefront_size: 64
  - .agpr_count:     0
    .args:
      - .address_space:  global
        .offset:         0
        .size:           8
        .value_kind:     global_buffer
      - .actual_access:  read_only
        .address_space:  global
        .offset:         8
        .size:           8
        .value_kind:     global_buffer
      - .offset:         16
        .size:           8
        .value_kind:     by_value
      - .offset:         24
        .size:           8
        .value_kind:     by_value
      - .offset:         32
        .size:           8
        .value_kind:     by_value
      - .offset:         40
        .size:           8
        .value_kind:     by_value
      - .offset:         48
        .size:           4
        .value_kind:     hidden_block_count_x
      - .offset:         52
        .size:           4
        .value_kind:     hidden_block_count_y
      - .offset:         56
        .size:           4
        .value_kind:     hidden_block_count_z
      - .offset:         60
        .size:           2
        .value_kind:     hidden_group_size_x
      - .offset:         62
        .size:           2
        .value_kind:     hidden_group_size_y
      - .offset:         64
        .size:           2
        .value_kind:     hidden_group_size_z
      - .offset:         66
        .size:           2
        .value_kind:     hidden_remainder_x
      - .offset:         68
        .size:           2
        .value_kind:     hidden_remainder_y
      - .offset:         70
        .size:           2
        .value_kind:     hidden_remainder_z
      - .offset:         88
        .size:           8
        .value_kind:     hidden_global_offset_x
      - .offset:         96
        .size:           8
        .value_kind:     hidden_global_offset_y
      - .offset:         104
        .size:           8
        .value_kind:     hidden_global_offset_z
      - .offset:         112
        .size:           2
        .value_kind:     hidden_grid_dims
    .group_segment_fixed_size: 0
    .kernarg_segment_align: 8
    .kernarg_segment_size: 304
    .language:       OpenCL C
    .language_version:
      - 2
      - 0
    .max_flat_workgroup_size: 1024
    .name:           _ZN2at6native12_GLOBAL__N_130reflection_pad1d_backward_flatIN3c107complexIfEEEEvPT_PKS6_llll
    .private_segment_fixed_size: 0
    .sgpr_count:     34
    .sgpr_spill_count: 0
    .symbol:         _ZN2at6native12_GLOBAL__N_130reflection_pad1d_backward_flatIN3c107complexIfEEEEvPT_PKS6_llll.kd
    .uniform_work_group_size: 1
    .uses_dynamic_stack: false
    .vgpr_count:     17
    .vgpr_spill_count: 0
    .wavefront_size: 64
  - .agpr_count:     0
    .args:
      - .address_space:  global
        .offset:         0
        .size:           8
        .value_kind:     global_buffer
      - .address_space:  global
        .offset:         8
        .size:           8
        .value_kind:     global_buffer
      - .offset:         16
        .size:           8
        .value_kind:     by_value
      - .offset:         24
        .size:           8
        .value_kind:     by_value
      - .offset:         32
        .size:           8
        .value_kind:     by_value
      - .offset:         40
        .size:           4
        .value_kind:     hidden_block_count_x
      - .offset:         44
        .size:           4
        .value_kind:     hidden_block_count_y
      - .offset:         48
        .size:           4
        .value_kind:     hidden_block_count_z
      - .offset:         52
        .size:           2
        .value_kind:     hidden_group_size_x
      - .offset:         54
        .size:           2
        .value_kind:     hidden_group_size_y
      - .offset:         56
        .size:           2
        .value_kind:     hidden_group_size_z
      - .offset:         58
        .size:           2
        .value_kind:     hidden_remainder_x
      - .offset:         60
        .size:           2
        .value_kind:     hidden_remainder_y
      - .offset:         62
        .size:           2
        .value_kind:     hidden_remainder_z
      - .offset:         80
        .size:           8
        .value_kind:     hidden_global_offset_x
      - .offset:         88
        .size:           8
        .value_kind:     hidden_global_offset_y
      - .offset:         96
        .size:           8
        .value_kind:     hidden_global_offset_z
      - .offset:         104
        .size:           2
        .value_kind:     hidden_grid_dims
    .group_segment_fixed_size: 0
    .kernarg_segment_align: 8
    .kernarg_segment_size: 296
    .language:       OpenCL C
    .language_version:
      - 2
      - 0
    .max_flat_workgroup_size: 1024
    .name:           _ZN2at6native12_GLOBAL__N_136reflection_pad1d_backward_out_kernelIN3c104HalfEEEvPT_PKS5_lll
    .private_segment_fixed_size: 0
    .sgpr_count:     24
    .sgpr_spill_count: 0
    .symbol:         _ZN2at6native12_GLOBAL__N_136reflection_pad1d_backward_out_kernelIN3c104HalfEEEvPT_PKS5_lll.kd
    .uniform_work_group_size: 1
    .uses_dynamic_stack: false
    .vgpr_count:     8
    .vgpr_spill_count: 0
    .wavefront_size: 64
  - .agpr_count:     0
    .args:
      - .address_space:  global
        .offset:         0
        .size:           8
        .value_kind:     global_buffer
      - .actual_access:  read_only
        .address_space:  global
        .offset:         8
        .size:           8
        .value_kind:     global_buffer
      - .offset:         16
        .size:           8
        .value_kind:     by_value
      - .offset:         24
        .size:           8
        .value_kind:     by_value
      - .offset:         32
        .size:           8
        .value_kind:     by_value
      - .offset:         40
        .size:           8
        .value_kind:     by_value
      - .offset:         48
        .size:           4
        .value_kind:     hidden_block_count_x
      - .offset:         52
        .size:           4
        .value_kind:     hidden_block_count_y
      - .offset:         56
        .size:           4
        .value_kind:     hidden_block_count_z
      - .offset:         60
        .size:           2
        .value_kind:     hidden_group_size_x
      - .offset:         62
        .size:           2
        .value_kind:     hidden_group_size_y
      - .offset:         64
        .size:           2
        .value_kind:     hidden_group_size_z
      - .offset:         66
        .size:           2
        .value_kind:     hidden_remainder_x
      - .offset:         68
        .size:           2
        .value_kind:     hidden_remainder_y
      - .offset:         70
        .size:           2
        .value_kind:     hidden_remainder_z
      - .offset:         88
        .size:           8
        .value_kind:     hidden_global_offset_x
      - .offset:         96
        .size:           8
        .value_kind:     hidden_global_offset_y
      - .offset:         104
        .size:           8
        .value_kind:     hidden_global_offset_z
      - .offset:         112
        .size:           2
        .value_kind:     hidden_grid_dims
    .group_segment_fixed_size: 0
    .kernarg_segment_align: 8
    .kernarg_segment_size: 304
    .language:       OpenCL C
    .language_version:
      - 2
      - 0
    .max_flat_workgroup_size: 1024
    .name:           _ZN2at6native12_GLOBAL__N_130reflection_pad1d_backward_flatIN3c104HalfEEEvPT_PKS5_llll
    .private_segment_fixed_size: 0
    .sgpr_count:     35
    .sgpr_spill_count: 0
    .symbol:         _ZN2at6native12_GLOBAL__N_130reflection_pad1d_backward_flatIN3c104HalfEEEvPT_PKS5_llll.kd
    .uniform_work_group_size: 1
    .uses_dynamic_stack: false
    .vgpr_count:     17
    .vgpr_spill_count: 0
    .wavefront_size: 64
  - .agpr_count:     0
    .args:
      - .address_space:  global
        .offset:         0
        .size:           8
        .value_kind:     global_buffer
      - .address_space:  global
        .offset:         8
        .size:           8
        .value_kind:     global_buffer
      - .offset:         16
        .size:           8
        .value_kind:     by_value
      - .offset:         24
        .size:           8
        .value_kind:     by_value
      - .offset:         32
        .size:           8
        .value_kind:     by_value
      - .offset:         40
        .size:           4
        .value_kind:     hidden_block_count_x
      - .offset:         44
        .size:           4
        .value_kind:     hidden_block_count_y
      - .offset:         48
        .size:           4
        .value_kind:     hidden_block_count_z
      - .offset:         52
        .size:           2
        .value_kind:     hidden_group_size_x
      - .offset:         54
        .size:           2
        .value_kind:     hidden_group_size_y
      - .offset:         56
        .size:           2
        .value_kind:     hidden_group_size_z
      - .offset:         58
        .size:           2
        .value_kind:     hidden_remainder_x
      - .offset:         60
        .size:           2
        .value_kind:     hidden_remainder_y
      - .offset:         62
        .size:           2
        .value_kind:     hidden_remainder_z
      - .offset:         80
        .size:           8
        .value_kind:     hidden_global_offset_x
      - .offset:         88
        .size:           8
        .value_kind:     hidden_global_offset_y
      - .offset:         96
        .size:           8
        .value_kind:     hidden_global_offset_z
      - .offset:         104
        .size:           2
        .value_kind:     hidden_grid_dims
    .group_segment_fixed_size: 0
    .kernarg_segment_align: 8
    .kernarg_segment_size: 296
    .language:       OpenCL C
    .language_version:
      - 2
      - 0
    .max_flat_workgroup_size: 1024
    .name:           _ZN2at6native12_GLOBAL__N_136reflection_pad1d_backward_out_kernelIN3c108BFloat16EEEvPT_PKS5_lll
    .private_segment_fixed_size: 0
    .sgpr_count:     24
    .sgpr_spill_count: 0
    .symbol:         _ZN2at6native12_GLOBAL__N_136reflection_pad1d_backward_out_kernelIN3c108BFloat16EEEvPT_PKS5_lll.kd
    .uniform_work_group_size: 1
    .uses_dynamic_stack: false
    .vgpr_count:     8
    .vgpr_spill_count: 0
    .wavefront_size: 64
  - .agpr_count:     0
    .args:
      - .address_space:  global
        .offset:         0
        .size:           8
        .value_kind:     global_buffer
      - .actual_access:  read_only
        .address_space:  global
        .offset:         8
        .size:           8
        .value_kind:     global_buffer
      - .offset:         16
        .size:           8
        .value_kind:     by_value
      - .offset:         24
        .size:           8
        .value_kind:     by_value
      - .offset:         32
        .size:           8
        .value_kind:     by_value
      - .offset:         40
        .size:           8
        .value_kind:     by_value
      - .offset:         48
        .size:           4
        .value_kind:     hidden_block_count_x
      - .offset:         52
        .size:           4
        .value_kind:     hidden_block_count_y
      - .offset:         56
        .size:           4
        .value_kind:     hidden_block_count_z
      - .offset:         60
        .size:           2
        .value_kind:     hidden_group_size_x
      - .offset:         62
        .size:           2
        .value_kind:     hidden_group_size_y
      - .offset:         64
        .size:           2
        .value_kind:     hidden_group_size_z
      - .offset:         66
        .size:           2
        .value_kind:     hidden_remainder_x
      - .offset:         68
        .size:           2
        .value_kind:     hidden_remainder_y
      - .offset:         70
        .size:           2
        .value_kind:     hidden_remainder_z
      - .offset:         88
        .size:           8
        .value_kind:     hidden_global_offset_x
      - .offset:         96
        .size:           8
        .value_kind:     hidden_global_offset_y
      - .offset:         104
        .size:           8
        .value_kind:     hidden_global_offset_z
      - .offset:         112
        .size:           2
        .value_kind:     hidden_grid_dims
    .group_segment_fixed_size: 0
    .kernarg_segment_align: 8
    .kernarg_segment_size: 304
    .language:       OpenCL C
    .language_version:
      - 2
      - 0
    .max_flat_workgroup_size: 1024
    .name:           _ZN2at6native12_GLOBAL__N_130reflection_pad1d_backward_flatIN3c108BFloat16EEEvPT_PKS5_llll
    .private_segment_fixed_size: 0
    .sgpr_count:     36
    .sgpr_spill_count: 0
    .symbol:         _ZN2at6native12_GLOBAL__N_130reflection_pad1d_backward_flatIN3c108BFloat16EEEvPT_PKS5_llll.kd
    .uniform_work_group_size: 1
    .uses_dynamic_stack: false
    .vgpr_count:     18
    .vgpr_spill_count: 0
    .wavefront_size: 64
  - .agpr_count:     0
    .args:
      - .offset:         0
        .size:           88
        .value_kind:     by_value
      - .offset:         88
        .size:           88
        .value_kind:     by_value
      - .offset:         176
        .size:           8
        .value_kind:     by_value
      - .offset:         184
        .size:           8
        .value_kind:     by_value
      - .offset:         192
        .size:           8
        .value_kind:     by_value
      - .offset:         200
        .size:           8
        .value_kind:     by_value
      - .offset:         208
        .size:           8
        .value_kind:     by_value
      - .offset:         216
        .size:           4
        .value_kind:     hidden_block_count_x
      - .offset:         220
        .size:           4
        .value_kind:     hidden_block_count_y
      - .offset:         224
        .size:           4
        .value_kind:     hidden_block_count_z
      - .offset:         228
        .size:           2
        .value_kind:     hidden_group_size_x
      - .offset:         230
        .size:           2
        .value_kind:     hidden_group_size_y
      - .offset:         232
        .size:           2
        .value_kind:     hidden_group_size_z
      - .offset:         234
        .size:           2
        .value_kind:     hidden_remainder_x
      - .offset:         236
        .size:           2
        .value_kind:     hidden_remainder_y
      - .offset:         238
        .size:           2
        .value_kind:     hidden_remainder_z
      - .offset:         256
        .size:           8
        .value_kind:     hidden_global_offset_x
      - .offset:         264
        .size:           8
        .value_kind:     hidden_global_offset_y
      - .offset:         272
        .size:           8
        .value_kind:     hidden_global_offset_z
      - .offset:         280
        .size:           2
        .value_kind:     hidden_grid_dims
    .group_segment_fixed_size: 0
    .kernarg_segment_align: 8
    .kernarg_segment_size: 472
    .language:       OpenCL C
    .language_version:
      - 2
      - 0
    .max_flat_workgroup_size: 1024
    .name:           _ZN2at6native12_GLOBAL__N_127reflection_pad3d_out_kernelIhEEvN5torch10headeronly6detail27GenericPackedTensorAccessorINS5_14TensorAccessorIN3c108ArrayRefIlEEKT_Lm4ENS4_16DefaultPtrTraitsElEENS_6detail16IndexBoundsCheckILm5ElEESC_Lm5ESD_lEENS6_INS7_ISA_SB_Lm4ESD_lEESH_SB_Lm5ESD_lEElllll
    .private_segment_fixed_size: 0
    .sgpr_count:     61
    .sgpr_spill_count: 0
    .symbol:         _ZN2at6native12_GLOBAL__N_127reflection_pad3d_out_kernelIhEEvN5torch10headeronly6detail27GenericPackedTensorAccessorINS5_14TensorAccessorIN3c108ArrayRefIlEEKT_Lm4ENS4_16DefaultPtrTraitsElEENS_6detail16IndexBoundsCheckILm5ElEESC_Lm5ESD_lEENS6_INS7_ISA_SB_Lm4ESD_lEESH_SB_Lm5ESD_lEElllll.kd
    .uniform_work_group_size: 1
    .uses_dynamic_stack: false
    .vgpr_count:     17
    .vgpr_spill_count: 0
    .wavefront_size: 64
  - .agpr_count:     0
    .args:
      - .offset:         0
        .size:           88
        .value_kind:     by_value
      - .offset:         88
        .size:           88
        .value_kind:     by_value
      - .offset:         176
        .size:           8
        .value_kind:     by_value
      - .offset:         184
        .size:           8
        .value_kind:     by_value
      - .offset:         192
        .size:           8
        .value_kind:     by_value
      - .offset:         200
        .size:           8
        .value_kind:     by_value
      - .offset:         208
        .size:           8
        .value_kind:     by_value
      - .offset:         216
        .size:           4
        .value_kind:     hidden_block_count_x
      - .offset:         220
        .size:           4
        .value_kind:     hidden_block_count_y
      - .offset:         224
        .size:           4
        .value_kind:     hidden_block_count_z
      - .offset:         228
        .size:           2
        .value_kind:     hidden_group_size_x
      - .offset:         230
        .size:           2
        .value_kind:     hidden_group_size_y
      - .offset:         232
        .size:           2
        .value_kind:     hidden_group_size_z
      - .offset:         234
        .size:           2
        .value_kind:     hidden_remainder_x
      - .offset:         236
        .size:           2
        .value_kind:     hidden_remainder_y
      - .offset:         238
        .size:           2
        .value_kind:     hidden_remainder_z
      - .offset:         256
        .size:           8
        .value_kind:     hidden_global_offset_x
      - .offset:         264
        .size:           8
        .value_kind:     hidden_global_offset_y
      - .offset:         272
        .size:           8
        .value_kind:     hidden_global_offset_z
      - .offset:         280
        .size:           2
        .value_kind:     hidden_grid_dims
    .group_segment_fixed_size: 0
    .kernarg_segment_align: 8
    .kernarg_segment_size: 472
    .language:       OpenCL C
    .language_version:
      - 2
      - 0
    .max_flat_workgroup_size: 1024
    .name:           _ZN2at6native12_GLOBAL__N_127reflection_pad3d_out_kernelIaEEvN5torch10headeronly6detail27GenericPackedTensorAccessorINS5_14TensorAccessorIN3c108ArrayRefIlEEKT_Lm4ENS4_16DefaultPtrTraitsElEENS_6detail16IndexBoundsCheckILm5ElEESC_Lm5ESD_lEENS6_INS7_ISA_SB_Lm4ESD_lEESH_SB_Lm5ESD_lEElllll
    .private_segment_fixed_size: 0
    .sgpr_count:     61
    .sgpr_spill_count: 0
    .symbol:         _ZN2at6native12_GLOBAL__N_127reflection_pad3d_out_kernelIaEEvN5torch10headeronly6detail27GenericPackedTensorAccessorINS5_14TensorAccessorIN3c108ArrayRefIlEEKT_Lm4ENS4_16DefaultPtrTraitsElEENS_6detail16IndexBoundsCheckILm5ElEESC_Lm5ESD_lEENS6_INS7_ISA_SB_Lm4ESD_lEESH_SB_Lm5ESD_lEElllll.kd
    .uniform_work_group_size: 1
    .uses_dynamic_stack: false
    .vgpr_count:     17
    .vgpr_spill_count: 0
    .wavefront_size: 64
  - .agpr_count:     0
    .args:
      - .offset:         0
        .size:           88
        .value_kind:     by_value
      - .offset:         88
        .size:           88
        .value_kind:     by_value
      - .offset:         176
        .size:           8
        .value_kind:     by_value
      - .offset:         184
        .size:           8
        .value_kind:     by_value
      - .offset:         192
        .size:           8
        .value_kind:     by_value
      - .offset:         200
        .size:           8
        .value_kind:     by_value
      - .offset:         208
        .size:           8
        .value_kind:     by_value
      - .offset:         216
        .size:           4
        .value_kind:     hidden_block_count_x
      - .offset:         220
        .size:           4
        .value_kind:     hidden_block_count_y
      - .offset:         224
        .size:           4
        .value_kind:     hidden_block_count_z
      - .offset:         228
        .size:           2
        .value_kind:     hidden_group_size_x
      - .offset:         230
        .size:           2
        .value_kind:     hidden_group_size_y
      - .offset:         232
        .size:           2
        .value_kind:     hidden_group_size_z
      - .offset:         234
        .size:           2
        .value_kind:     hidden_remainder_x
      - .offset:         236
        .size:           2
        .value_kind:     hidden_remainder_y
      - .offset:         238
        .size:           2
        .value_kind:     hidden_remainder_z
      - .offset:         256
        .size:           8
        .value_kind:     hidden_global_offset_x
      - .offset:         264
        .size:           8
        .value_kind:     hidden_global_offset_y
      - .offset:         272
        .size:           8
        .value_kind:     hidden_global_offset_z
      - .offset:         280
        .size:           2
        .value_kind:     hidden_grid_dims
    .group_segment_fixed_size: 0
    .kernarg_segment_align: 8
    .kernarg_segment_size: 472
    .language:       OpenCL C
    .language_version:
      - 2
      - 0
    .max_flat_workgroup_size: 1024
    .name:           _ZN2at6native12_GLOBAL__N_127reflection_pad3d_out_kernelIiEEvN5torch10headeronly6detail27GenericPackedTensorAccessorINS5_14TensorAccessorIN3c108ArrayRefIlEEKT_Lm4ENS4_16DefaultPtrTraitsElEENS_6detail16IndexBoundsCheckILm5ElEESC_Lm5ESD_lEENS6_INS7_ISA_SB_Lm4ESD_lEESH_SB_Lm5ESD_lEElllll
    .private_segment_fixed_size: 0
    .sgpr_count:     61
    .sgpr_spill_count: 0
    .symbol:         _ZN2at6native12_GLOBAL__N_127reflection_pad3d_out_kernelIiEEvN5torch10headeronly6detail27GenericPackedTensorAccessorINS5_14TensorAccessorIN3c108ArrayRefIlEEKT_Lm4ENS4_16DefaultPtrTraitsElEENS_6detail16IndexBoundsCheckILm5ElEESC_Lm5ESD_lEENS6_INS7_ISA_SB_Lm4ESD_lEESH_SB_Lm5ESD_lEElllll.kd
    .uniform_work_group_size: 1
    .uses_dynamic_stack: false
    .vgpr_count:     17
    .vgpr_spill_count: 0
    .wavefront_size: 64
  - .agpr_count:     0
    .args:
      - .offset:         0
        .size:           88
        .value_kind:     by_value
      - .offset:         88
        .size:           88
        .value_kind:     by_value
      - .offset:         176
        .size:           8
        .value_kind:     by_value
      - .offset:         184
        .size:           8
        .value_kind:     by_value
      - .offset:         192
        .size:           8
        .value_kind:     by_value
      - .offset:         200
        .size:           8
        .value_kind:     by_value
      - .offset:         208
        .size:           8
        .value_kind:     by_value
      - .offset:         216
        .size:           4
        .value_kind:     hidden_block_count_x
      - .offset:         220
        .size:           4
        .value_kind:     hidden_block_count_y
      - .offset:         224
        .size:           4
        .value_kind:     hidden_block_count_z
      - .offset:         228
        .size:           2
        .value_kind:     hidden_group_size_x
      - .offset:         230
        .size:           2
        .value_kind:     hidden_group_size_y
      - .offset:         232
        .size:           2
        .value_kind:     hidden_group_size_z
      - .offset:         234
        .size:           2
        .value_kind:     hidden_remainder_x
      - .offset:         236
        .size:           2
        .value_kind:     hidden_remainder_y
      - .offset:         238
        .size:           2
        .value_kind:     hidden_remainder_z
      - .offset:         256
        .size:           8
        .value_kind:     hidden_global_offset_x
      - .offset:         264
        .size:           8
        .value_kind:     hidden_global_offset_y
      - .offset:         272
        .size:           8
        .value_kind:     hidden_global_offset_z
      - .offset:         280
        .size:           2
        .value_kind:     hidden_grid_dims
    .group_segment_fixed_size: 0
    .kernarg_segment_align: 8
    .kernarg_segment_size: 472
    .language:       OpenCL C
    .language_version:
      - 2
      - 0
    .max_flat_workgroup_size: 1024
    .name:           _ZN2at6native12_GLOBAL__N_127reflection_pad3d_out_kernelIlEEvN5torch10headeronly6detail27GenericPackedTensorAccessorINS5_14TensorAccessorIN3c108ArrayRefIlEEKT_Lm4ENS4_16DefaultPtrTraitsElEENS_6detail16IndexBoundsCheckILm5ElEESC_Lm5ESD_lEENS6_INS7_ISA_SB_Lm4ESD_lEESH_SB_Lm5ESD_lEElllll
    .private_segment_fixed_size: 0
    .sgpr_count:     61
    .sgpr_spill_count: 0
    .symbol:         _ZN2at6native12_GLOBAL__N_127reflection_pad3d_out_kernelIlEEvN5torch10headeronly6detail27GenericPackedTensorAccessorINS5_14TensorAccessorIN3c108ArrayRefIlEEKT_Lm4ENS4_16DefaultPtrTraitsElEENS_6detail16IndexBoundsCheckILm5ElEESC_Lm5ESD_lEENS6_INS7_ISA_SB_Lm4ESD_lEESH_SB_Lm5ESD_lEElllll.kd
    .uniform_work_group_size: 1
    .uses_dynamic_stack: false
    .vgpr_count:     17
    .vgpr_spill_count: 0
    .wavefront_size: 64
  - .agpr_count:     0
    .args:
      - .offset:         0
        .size:           88
        .value_kind:     by_value
      - .offset:         88
        .size:           88
        .value_kind:     by_value
      - .offset:         176
        .size:           8
        .value_kind:     by_value
      - .offset:         184
        .size:           8
        .value_kind:     by_value
      - .offset:         192
        .size:           8
        .value_kind:     by_value
      - .offset:         200
        .size:           8
        .value_kind:     by_value
      - .offset:         208
        .size:           8
        .value_kind:     by_value
      - .offset:         216
        .size:           4
        .value_kind:     hidden_block_count_x
      - .offset:         220
        .size:           4
        .value_kind:     hidden_block_count_y
      - .offset:         224
        .size:           4
        .value_kind:     hidden_block_count_z
      - .offset:         228
        .size:           2
        .value_kind:     hidden_group_size_x
      - .offset:         230
        .size:           2
        .value_kind:     hidden_group_size_y
      - .offset:         232
        .size:           2
        .value_kind:     hidden_group_size_z
      - .offset:         234
        .size:           2
        .value_kind:     hidden_remainder_x
      - .offset:         236
        .size:           2
        .value_kind:     hidden_remainder_y
      - .offset:         238
        .size:           2
        .value_kind:     hidden_remainder_z
      - .offset:         256
        .size:           8
        .value_kind:     hidden_global_offset_x
      - .offset:         264
        .size:           8
        .value_kind:     hidden_global_offset_y
      - .offset:         272
        .size:           8
        .value_kind:     hidden_global_offset_z
      - .offset:         280
        .size:           2
        .value_kind:     hidden_grid_dims
    .group_segment_fixed_size: 0
    .kernarg_segment_align: 8
    .kernarg_segment_size: 472
    .language:       OpenCL C
    .language_version:
      - 2
      - 0
    .max_flat_workgroup_size: 1024
    .name:           _ZN2at6native12_GLOBAL__N_127reflection_pad3d_out_kernelIsEEvN5torch10headeronly6detail27GenericPackedTensorAccessorINS5_14TensorAccessorIN3c108ArrayRefIlEEKT_Lm4ENS4_16DefaultPtrTraitsElEENS_6detail16IndexBoundsCheckILm5ElEESC_Lm5ESD_lEENS6_INS7_ISA_SB_Lm4ESD_lEESH_SB_Lm5ESD_lEElllll
    .private_segment_fixed_size: 0
    .sgpr_count:     61
    .sgpr_spill_count: 0
    .symbol:         _ZN2at6native12_GLOBAL__N_127reflection_pad3d_out_kernelIsEEvN5torch10headeronly6detail27GenericPackedTensorAccessorINS5_14TensorAccessorIN3c108ArrayRefIlEEKT_Lm4ENS4_16DefaultPtrTraitsElEENS_6detail16IndexBoundsCheckILm5ElEESC_Lm5ESD_lEENS6_INS7_ISA_SB_Lm4ESD_lEESH_SB_Lm5ESD_lEElllll.kd
    .uniform_work_group_size: 1
    .uses_dynamic_stack: false
    .vgpr_count:     17
    .vgpr_spill_count: 0
    .wavefront_size: 64
  - .agpr_count:     0
    .args:
      - .offset:         0
        .size:           88
        .value_kind:     by_value
      - .offset:         88
        .size:           88
        .value_kind:     by_value
      - .offset:         176
        .size:           8
        .value_kind:     by_value
      - .offset:         184
        .size:           8
        .value_kind:     by_value
      - .offset:         192
        .size:           8
        .value_kind:     by_value
      - .offset:         200
        .size:           8
        .value_kind:     by_value
      - .offset:         208
        .size:           8
        .value_kind:     by_value
      - .offset:         216
        .size:           4
        .value_kind:     hidden_block_count_x
      - .offset:         220
        .size:           4
        .value_kind:     hidden_block_count_y
      - .offset:         224
        .size:           4
        .value_kind:     hidden_block_count_z
      - .offset:         228
        .size:           2
        .value_kind:     hidden_group_size_x
      - .offset:         230
        .size:           2
        .value_kind:     hidden_group_size_y
      - .offset:         232
        .size:           2
        .value_kind:     hidden_group_size_z
      - .offset:         234
        .size:           2
        .value_kind:     hidden_remainder_x
      - .offset:         236
        .size:           2
        .value_kind:     hidden_remainder_y
      - .offset:         238
        .size:           2
        .value_kind:     hidden_remainder_z
      - .offset:         256
        .size:           8
        .value_kind:     hidden_global_offset_x
      - .offset:         264
        .size:           8
        .value_kind:     hidden_global_offset_y
      - .offset:         272
        .size:           8
        .value_kind:     hidden_global_offset_z
      - .offset:         280
        .size:           2
        .value_kind:     hidden_grid_dims
    .group_segment_fixed_size: 0
    .kernarg_segment_align: 8
    .kernarg_segment_size: 472
    .language:       OpenCL C
    .language_version:
      - 2
      - 0
    .max_flat_workgroup_size: 1024
    .name:           _ZN2at6native12_GLOBAL__N_127reflection_pad3d_out_kernelIdEEvN5torch10headeronly6detail27GenericPackedTensorAccessorINS5_14TensorAccessorIN3c108ArrayRefIlEEKT_Lm4ENS4_16DefaultPtrTraitsElEENS_6detail16IndexBoundsCheckILm5ElEESC_Lm5ESD_lEENS6_INS7_ISA_SB_Lm4ESD_lEESH_SB_Lm5ESD_lEElllll
    .private_segment_fixed_size: 0
    .sgpr_count:     61
    .sgpr_spill_count: 0
    .symbol:         _ZN2at6native12_GLOBAL__N_127reflection_pad3d_out_kernelIdEEvN5torch10headeronly6detail27GenericPackedTensorAccessorINS5_14TensorAccessorIN3c108ArrayRefIlEEKT_Lm4ENS4_16DefaultPtrTraitsElEENS_6detail16IndexBoundsCheckILm5ElEESC_Lm5ESD_lEENS6_INS7_ISA_SB_Lm4ESD_lEESH_SB_Lm5ESD_lEElllll.kd
    .uniform_work_group_size: 1
    .uses_dynamic_stack: false
    .vgpr_count:     17
    .vgpr_spill_count: 0
    .wavefront_size: 64
  - .agpr_count:     0
    .args:
      - .offset:         0
        .size:           88
        .value_kind:     by_value
      - .offset:         88
        .size:           88
        .value_kind:     by_value
      - .offset:         176
        .size:           8
        .value_kind:     by_value
      - .offset:         184
        .size:           8
        .value_kind:     by_value
      - .offset:         192
        .size:           8
        .value_kind:     by_value
      - .offset:         200
        .size:           8
        .value_kind:     by_value
      - .offset:         208
        .size:           8
        .value_kind:     by_value
      - .offset:         216
        .size:           4
        .value_kind:     hidden_block_count_x
      - .offset:         220
        .size:           4
        .value_kind:     hidden_block_count_y
      - .offset:         224
        .size:           4
        .value_kind:     hidden_block_count_z
      - .offset:         228
        .size:           2
        .value_kind:     hidden_group_size_x
      - .offset:         230
        .size:           2
        .value_kind:     hidden_group_size_y
      - .offset:         232
        .size:           2
        .value_kind:     hidden_group_size_z
      - .offset:         234
        .size:           2
        .value_kind:     hidden_remainder_x
      - .offset:         236
        .size:           2
        .value_kind:     hidden_remainder_y
      - .offset:         238
        .size:           2
        .value_kind:     hidden_remainder_z
      - .offset:         256
        .size:           8
        .value_kind:     hidden_global_offset_x
      - .offset:         264
        .size:           8
        .value_kind:     hidden_global_offset_y
      - .offset:         272
        .size:           8
        .value_kind:     hidden_global_offset_z
      - .offset:         280
        .size:           2
        .value_kind:     hidden_grid_dims
    .group_segment_fixed_size: 0
    .kernarg_segment_align: 8
    .kernarg_segment_size: 472
    .language:       OpenCL C
    .language_version:
      - 2
      - 0
    .max_flat_workgroup_size: 1024
    .name:           _ZN2at6native12_GLOBAL__N_127reflection_pad3d_out_kernelIfEEvN5torch10headeronly6detail27GenericPackedTensorAccessorINS5_14TensorAccessorIN3c108ArrayRefIlEEKT_Lm4ENS4_16DefaultPtrTraitsElEENS_6detail16IndexBoundsCheckILm5ElEESC_Lm5ESD_lEENS6_INS7_ISA_SB_Lm4ESD_lEESH_SB_Lm5ESD_lEElllll
    .private_segment_fixed_size: 0
    .sgpr_count:     61
    .sgpr_spill_count: 0
    .symbol:         _ZN2at6native12_GLOBAL__N_127reflection_pad3d_out_kernelIfEEvN5torch10headeronly6detail27GenericPackedTensorAccessorINS5_14TensorAccessorIN3c108ArrayRefIlEEKT_Lm4ENS4_16DefaultPtrTraitsElEENS_6detail16IndexBoundsCheckILm5ElEESC_Lm5ESD_lEENS6_INS7_ISA_SB_Lm4ESD_lEESH_SB_Lm5ESD_lEElllll.kd
    .uniform_work_group_size: 1
    .uses_dynamic_stack: false
    .vgpr_count:     17
    .vgpr_spill_count: 0
    .wavefront_size: 64
  - .agpr_count:     0
    .args:
      - .offset:         0
        .size:           88
        .value_kind:     by_value
      - .offset:         88
        .size:           88
        .value_kind:     by_value
      - .offset:         176
        .size:           8
        .value_kind:     by_value
      - .offset:         184
        .size:           8
        .value_kind:     by_value
      - .offset:         192
        .size:           8
        .value_kind:     by_value
      - .offset:         200
        .size:           8
        .value_kind:     by_value
      - .offset:         208
        .size:           8
        .value_kind:     by_value
      - .offset:         216
        .size:           4
        .value_kind:     hidden_block_count_x
      - .offset:         220
        .size:           4
        .value_kind:     hidden_block_count_y
      - .offset:         224
        .size:           4
        .value_kind:     hidden_block_count_z
      - .offset:         228
        .size:           2
        .value_kind:     hidden_group_size_x
      - .offset:         230
        .size:           2
        .value_kind:     hidden_group_size_y
      - .offset:         232
        .size:           2
        .value_kind:     hidden_group_size_z
      - .offset:         234
        .size:           2
        .value_kind:     hidden_remainder_x
      - .offset:         236
        .size:           2
        .value_kind:     hidden_remainder_y
      - .offset:         238
        .size:           2
        .value_kind:     hidden_remainder_z
      - .offset:         256
        .size:           8
        .value_kind:     hidden_global_offset_x
      - .offset:         264
        .size:           8
        .value_kind:     hidden_global_offset_y
      - .offset:         272
        .size:           8
        .value_kind:     hidden_global_offset_z
      - .offset:         280
        .size:           2
        .value_kind:     hidden_grid_dims
    .group_segment_fixed_size: 0
    .kernarg_segment_align: 8
    .kernarg_segment_size: 472
    .language:       OpenCL C
    .language_version:
      - 2
      - 0
    .max_flat_workgroup_size: 1024
    .name:           _ZN2at6native12_GLOBAL__N_127reflection_pad3d_out_kernelIN3c107complexIdEEEEvN5torch10headeronly6detail27GenericPackedTensorAccessorINS8_14TensorAccessorINS3_8ArrayRefIlEEKT_Lm4ENS7_16DefaultPtrTraitsElEENS_6detail16IndexBoundsCheckILm5ElEESE_Lm5ESF_lEENS9_INSA_ISC_SD_Lm4ESF_lEESJ_SD_Lm5ESF_lEElllll
    .private_segment_fixed_size: 0
    .sgpr_count:     61
    .sgpr_spill_count: 0
    .symbol:         _ZN2at6native12_GLOBAL__N_127reflection_pad3d_out_kernelIN3c107complexIdEEEEvN5torch10headeronly6detail27GenericPackedTensorAccessorINS8_14TensorAccessorINS3_8ArrayRefIlEEKT_Lm4ENS7_16DefaultPtrTraitsElEENS_6detail16IndexBoundsCheckILm5ElEESE_Lm5ESF_lEENS9_INSA_ISC_SD_Lm4ESF_lEESJ_SD_Lm5ESF_lEElllll.kd
    .uniform_work_group_size: 1
    .uses_dynamic_stack: false
    .vgpr_count:     17
    .vgpr_spill_count: 0
    .wavefront_size: 64
  - .agpr_count:     0
    .args:
      - .offset:         0
        .size:           88
        .value_kind:     by_value
      - .offset:         88
        .size:           88
        .value_kind:     by_value
      - .offset:         176
        .size:           8
        .value_kind:     by_value
      - .offset:         184
        .size:           8
        .value_kind:     by_value
      - .offset:         192
        .size:           8
        .value_kind:     by_value
      - .offset:         200
        .size:           8
        .value_kind:     by_value
      - .offset:         208
        .size:           8
        .value_kind:     by_value
      - .offset:         216
        .size:           4
        .value_kind:     hidden_block_count_x
      - .offset:         220
        .size:           4
        .value_kind:     hidden_block_count_y
      - .offset:         224
        .size:           4
        .value_kind:     hidden_block_count_z
      - .offset:         228
        .size:           2
        .value_kind:     hidden_group_size_x
      - .offset:         230
        .size:           2
        .value_kind:     hidden_group_size_y
      - .offset:         232
        .size:           2
        .value_kind:     hidden_group_size_z
      - .offset:         234
        .size:           2
        .value_kind:     hidden_remainder_x
      - .offset:         236
        .size:           2
        .value_kind:     hidden_remainder_y
      - .offset:         238
        .size:           2
        .value_kind:     hidden_remainder_z
      - .offset:         256
        .size:           8
        .value_kind:     hidden_global_offset_x
      - .offset:         264
        .size:           8
        .value_kind:     hidden_global_offset_y
      - .offset:         272
        .size:           8
        .value_kind:     hidden_global_offset_z
      - .offset:         280
        .size:           2
        .value_kind:     hidden_grid_dims
    .group_segment_fixed_size: 0
    .kernarg_segment_align: 8
    .kernarg_segment_size: 472
    .language:       OpenCL C
    .language_version:
      - 2
      - 0
    .max_flat_workgroup_size: 1024
    .name:           _ZN2at6native12_GLOBAL__N_127reflection_pad3d_out_kernelIN3c107complexIfEEEEvN5torch10headeronly6detail27GenericPackedTensorAccessorINS8_14TensorAccessorINS3_8ArrayRefIlEEKT_Lm4ENS7_16DefaultPtrTraitsElEENS_6detail16IndexBoundsCheckILm5ElEESE_Lm5ESF_lEENS9_INSA_ISC_SD_Lm4ESF_lEESJ_SD_Lm5ESF_lEElllll
    .private_segment_fixed_size: 0
    .sgpr_count:     61
    .sgpr_spill_count: 0
    .symbol:         _ZN2at6native12_GLOBAL__N_127reflection_pad3d_out_kernelIN3c107complexIfEEEEvN5torch10headeronly6detail27GenericPackedTensorAccessorINS8_14TensorAccessorINS3_8ArrayRefIlEEKT_Lm4ENS7_16DefaultPtrTraitsElEENS_6detail16IndexBoundsCheckILm5ElEESE_Lm5ESF_lEENS9_INSA_ISC_SD_Lm4ESF_lEESJ_SD_Lm5ESF_lEElllll.kd
    .uniform_work_group_size: 1
    .uses_dynamic_stack: false
    .vgpr_count:     17
    .vgpr_spill_count: 0
    .wavefront_size: 64
  - .agpr_count:     0
    .args:
      - .offset:         0
        .size:           88
        .value_kind:     by_value
      - .offset:         88
        .size:           88
        .value_kind:     by_value
      - .offset:         176
        .size:           8
        .value_kind:     by_value
      - .offset:         184
        .size:           8
        .value_kind:     by_value
      - .offset:         192
        .size:           8
        .value_kind:     by_value
      - .offset:         200
        .size:           8
        .value_kind:     by_value
      - .offset:         208
        .size:           8
        .value_kind:     by_value
      - .offset:         216
        .size:           4
        .value_kind:     hidden_block_count_x
      - .offset:         220
        .size:           4
        .value_kind:     hidden_block_count_y
      - .offset:         224
        .size:           4
        .value_kind:     hidden_block_count_z
      - .offset:         228
        .size:           2
        .value_kind:     hidden_group_size_x
      - .offset:         230
        .size:           2
        .value_kind:     hidden_group_size_y
      - .offset:         232
        .size:           2
        .value_kind:     hidden_group_size_z
      - .offset:         234
        .size:           2
        .value_kind:     hidden_remainder_x
      - .offset:         236
        .size:           2
        .value_kind:     hidden_remainder_y
      - .offset:         238
        .size:           2
        .value_kind:     hidden_remainder_z
      - .offset:         256
        .size:           8
        .value_kind:     hidden_global_offset_x
      - .offset:         264
        .size:           8
        .value_kind:     hidden_global_offset_y
      - .offset:         272
        .size:           8
        .value_kind:     hidden_global_offset_z
      - .offset:         280
        .size:           2
        .value_kind:     hidden_grid_dims
    .group_segment_fixed_size: 0
    .kernarg_segment_align: 8
    .kernarg_segment_size: 472
    .language:       OpenCL C
    .language_version:
      - 2
      - 0
    .max_flat_workgroup_size: 1024
    .name:           _ZN2at6native12_GLOBAL__N_127reflection_pad3d_out_kernelIN3c104HalfEEEvN5torch10headeronly6detail27GenericPackedTensorAccessorINS7_14TensorAccessorINS3_8ArrayRefIlEEKT_Lm4ENS6_16DefaultPtrTraitsElEENS_6detail16IndexBoundsCheckILm5ElEESD_Lm5ESE_lEENS8_INS9_ISB_SC_Lm4ESE_lEESI_SC_Lm5ESE_lEElllll
    .private_segment_fixed_size: 0
    .sgpr_count:     61
    .sgpr_spill_count: 0
    .symbol:         _ZN2at6native12_GLOBAL__N_127reflection_pad3d_out_kernelIN3c104HalfEEEvN5torch10headeronly6detail27GenericPackedTensorAccessorINS7_14TensorAccessorINS3_8ArrayRefIlEEKT_Lm4ENS6_16DefaultPtrTraitsElEENS_6detail16IndexBoundsCheckILm5ElEESD_Lm5ESE_lEENS8_INS9_ISB_SC_Lm4ESE_lEESI_SC_Lm5ESE_lEElllll.kd
    .uniform_work_group_size: 1
    .uses_dynamic_stack: false
    .vgpr_count:     17
    .vgpr_spill_count: 0
    .wavefront_size: 64
  - .agpr_count:     0
    .args:
      - .offset:         0
        .size:           88
        .value_kind:     by_value
      - .offset:         88
        .size:           88
        .value_kind:     by_value
      - .offset:         176
        .size:           8
        .value_kind:     by_value
      - .offset:         184
        .size:           8
        .value_kind:     by_value
      - .offset:         192
        .size:           8
        .value_kind:     by_value
      - .offset:         200
        .size:           8
        .value_kind:     by_value
      - .offset:         208
        .size:           8
        .value_kind:     by_value
      - .offset:         216
        .size:           4
        .value_kind:     hidden_block_count_x
      - .offset:         220
        .size:           4
        .value_kind:     hidden_block_count_y
      - .offset:         224
        .size:           4
        .value_kind:     hidden_block_count_z
      - .offset:         228
        .size:           2
        .value_kind:     hidden_group_size_x
      - .offset:         230
        .size:           2
        .value_kind:     hidden_group_size_y
      - .offset:         232
        .size:           2
        .value_kind:     hidden_group_size_z
      - .offset:         234
        .size:           2
        .value_kind:     hidden_remainder_x
      - .offset:         236
        .size:           2
        .value_kind:     hidden_remainder_y
      - .offset:         238
        .size:           2
        .value_kind:     hidden_remainder_z
      - .offset:         256
        .size:           8
        .value_kind:     hidden_global_offset_x
      - .offset:         264
        .size:           8
        .value_kind:     hidden_global_offset_y
      - .offset:         272
        .size:           8
        .value_kind:     hidden_global_offset_z
      - .offset:         280
        .size:           2
        .value_kind:     hidden_grid_dims
    .group_segment_fixed_size: 0
    .kernarg_segment_align: 8
    .kernarg_segment_size: 472
    .language:       OpenCL C
    .language_version:
      - 2
      - 0
    .max_flat_workgroup_size: 1024
    .name:           _ZN2at6native12_GLOBAL__N_127reflection_pad3d_out_kernelIN3c108BFloat16EEEvN5torch10headeronly6detail27GenericPackedTensorAccessorINS7_14TensorAccessorINS3_8ArrayRefIlEEKT_Lm4ENS6_16DefaultPtrTraitsElEENS_6detail16IndexBoundsCheckILm5ElEESD_Lm5ESE_lEENS8_INS9_ISB_SC_Lm4ESE_lEESI_SC_Lm5ESE_lEElllll
    .private_segment_fixed_size: 0
    .sgpr_count:     61
    .sgpr_spill_count: 0
    .symbol:         _ZN2at6native12_GLOBAL__N_127reflection_pad3d_out_kernelIN3c108BFloat16EEEvN5torch10headeronly6detail27GenericPackedTensorAccessorINS7_14TensorAccessorINS3_8ArrayRefIlEEKT_Lm4ENS6_16DefaultPtrTraitsElEENS_6detail16IndexBoundsCheckILm5ElEESD_Lm5ESE_lEENS8_INS9_ISB_SC_Lm4ESE_lEESI_SC_Lm5ESE_lEElllll.kd
    .uniform_work_group_size: 1
    .uses_dynamic_stack: false
    .vgpr_count:     17
    .vgpr_spill_count: 0
    .wavefront_size: 64
  - .agpr_count:     0
    .args:
      - .offset:         0
        .size:           88
        .value_kind:     by_value
      - .offset:         88
        .size:           88
        .value_kind:     by_value
      - .offset:         176
        .size:           8
        .value_kind:     by_value
      - .offset:         184
        .size:           8
        .value_kind:     by_value
      - .offset:         192
        .size:           8
        .value_kind:     by_value
      - .offset:         200
        .size:           8
        .value_kind:     by_value
      - .offset:         208
        .size:           8
        .value_kind:     by_value
      - .offset:         216
        .size:           4
        .value_kind:     hidden_block_count_x
      - .offset:         220
        .size:           4
        .value_kind:     hidden_block_count_y
      - .offset:         224
        .size:           4
        .value_kind:     hidden_block_count_z
      - .offset:         228
        .size:           2
        .value_kind:     hidden_group_size_x
      - .offset:         230
        .size:           2
        .value_kind:     hidden_group_size_y
      - .offset:         232
        .size:           2
        .value_kind:     hidden_group_size_z
      - .offset:         234
        .size:           2
        .value_kind:     hidden_remainder_x
      - .offset:         236
        .size:           2
        .value_kind:     hidden_remainder_y
      - .offset:         238
        .size:           2
        .value_kind:     hidden_remainder_z
      - .offset:         256
        .size:           8
        .value_kind:     hidden_global_offset_x
      - .offset:         264
        .size:           8
        .value_kind:     hidden_global_offset_y
      - .offset:         272
        .size:           8
        .value_kind:     hidden_global_offset_z
      - .offset:         280
        .size:           2
        .value_kind:     hidden_grid_dims
    .group_segment_fixed_size: 0
    .kernarg_segment_align: 8
    .kernarg_segment_size: 472
    .language:       OpenCL C
    .language_version:
      - 2
      - 0
    .max_flat_workgroup_size: 1024
    .name:           _ZN2at6native12_GLOBAL__N_136reflection_pad3d_backward_out_kernelIdEEvN5torch10headeronly6detail27GenericPackedTensorAccessorINS5_14TensorAccessorIN3c108ArrayRefIlEET_Lm4ENS4_16DefaultPtrTraitsElEENS_6detail16IndexBoundsCheckILm5ElEESB_Lm5ESC_lEENS6_INS7_ISA_KSB_Lm4ESC_lEESG_SI_Lm5ESC_lEElllll
    .private_segment_fixed_size: 0
    .sgpr_count:     61
    .sgpr_spill_count: 0
    .symbol:         _ZN2at6native12_GLOBAL__N_136reflection_pad3d_backward_out_kernelIdEEvN5torch10headeronly6detail27GenericPackedTensorAccessorINS5_14TensorAccessorIN3c108ArrayRefIlEET_Lm4ENS4_16DefaultPtrTraitsElEENS_6detail16IndexBoundsCheckILm5ElEESB_Lm5ESC_lEENS6_INS7_ISA_KSB_Lm4ESC_lEESG_SI_Lm5ESC_lEElllll.kd
    .uniform_work_group_size: 1
    .uses_dynamic_stack: false
    .vgpr_count:     18
    .vgpr_spill_count: 0
    .wavefront_size: 64
  - .agpr_count:     0
    .args:
      - .offset:         0
        .size:           88
        .value_kind:     by_value
      - .offset:         88
        .size:           88
        .value_kind:     by_value
      - .offset:         176
        .size:           8
        .value_kind:     by_value
      - .offset:         184
        .size:           8
        .value_kind:     by_value
      - .offset:         192
        .size:           8
        .value_kind:     by_value
      - .offset:         200
        .size:           8
        .value_kind:     by_value
      - .offset:         208
        .size:           8
        .value_kind:     by_value
      - .offset:         216
        .size:           4
        .value_kind:     hidden_block_count_x
      - .offset:         220
        .size:           4
        .value_kind:     hidden_block_count_y
      - .offset:         224
        .size:           4
        .value_kind:     hidden_block_count_z
      - .offset:         228
        .size:           2
        .value_kind:     hidden_group_size_x
      - .offset:         230
        .size:           2
        .value_kind:     hidden_group_size_y
      - .offset:         232
        .size:           2
        .value_kind:     hidden_group_size_z
      - .offset:         234
        .size:           2
        .value_kind:     hidden_remainder_x
      - .offset:         236
        .size:           2
        .value_kind:     hidden_remainder_y
      - .offset:         238
        .size:           2
        .value_kind:     hidden_remainder_z
      - .offset:         256
        .size:           8
        .value_kind:     hidden_global_offset_x
      - .offset:         264
        .size:           8
        .value_kind:     hidden_global_offset_y
      - .offset:         272
        .size:           8
        .value_kind:     hidden_global_offset_z
      - .offset:         280
        .size:           2
        .value_kind:     hidden_grid_dims
    .group_segment_fixed_size: 0
    .kernarg_segment_align: 8
    .kernarg_segment_size: 472
    .language:       OpenCL C
    .language_version:
      - 2
      - 0
    .max_flat_workgroup_size: 1024
    .name:           _ZN2at6native12_GLOBAL__N_136reflection_pad3d_backward_out_kernelIfEEvN5torch10headeronly6detail27GenericPackedTensorAccessorINS5_14TensorAccessorIN3c108ArrayRefIlEET_Lm4ENS4_16DefaultPtrTraitsElEENS_6detail16IndexBoundsCheckILm5ElEESB_Lm5ESC_lEENS6_INS7_ISA_KSB_Lm4ESC_lEESG_SI_Lm5ESC_lEElllll
    .private_segment_fixed_size: 0
    .sgpr_count:     61
    .sgpr_spill_count: 0
    .symbol:         _ZN2at6native12_GLOBAL__N_136reflection_pad3d_backward_out_kernelIfEEvN5torch10headeronly6detail27GenericPackedTensorAccessorINS5_14TensorAccessorIN3c108ArrayRefIlEET_Lm4ENS4_16DefaultPtrTraitsElEENS_6detail16IndexBoundsCheckILm5ElEESB_Lm5ESC_lEENS6_INS7_ISA_KSB_Lm4ESC_lEESG_SI_Lm5ESC_lEElllll.kd
    .uniform_work_group_size: 1
    .uses_dynamic_stack: false
    .vgpr_count:     18
    .vgpr_spill_count: 0
    .wavefront_size: 64
  - .agpr_count:     0
    .args:
      - .offset:         0
        .size:           88
        .value_kind:     by_value
      - .offset:         88
        .size:           88
        .value_kind:     by_value
      - .offset:         176
        .size:           8
        .value_kind:     by_value
      - .offset:         184
        .size:           8
        .value_kind:     by_value
      - .offset:         192
        .size:           8
        .value_kind:     by_value
      - .offset:         200
        .size:           8
        .value_kind:     by_value
      - .offset:         208
        .size:           8
        .value_kind:     by_value
      - .offset:         216
        .size:           4
        .value_kind:     hidden_block_count_x
      - .offset:         220
        .size:           4
        .value_kind:     hidden_block_count_y
      - .offset:         224
        .size:           4
        .value_kind:     hidden_block_count_z
      - .offset:         228
        .size:           2
        .value_kind:     hidden_group_size_x
      - .offset:         230
        .size:           2
        .value_kind:     hidden_group_size_y
      - .offset:         232
        .size:           2
        .value_kind:     hidden_group_size_z
      - .offset:         234
        .size:           2
        .value_kind:     hidden_remainder_x
      - .offset:         236
        .size:           2
        .value_kind:     hidden_remainder_y
      - .offset:         238
        .size:           2
        .value_kind:     hidden_remainder_z
      - .offset:         256
        .size:           8
        .value_kind:     hidden_global_offset_x
      - .offset:         264
        .size:           8
        .value_kind:     hidden_global_offset_y
      - .offset:         272
        .size:           8
        .value_kind:     hidden_global_offset_z
      - .offset:         280
        .size:           2
        .value_kind:     hidden_grid_dims
    .group_segment_fixed_size: 0
    .kernarg_segment_align: 8
    .kernarg_segment_size: 472
    .language:       OpenCL C
    .language_version:
      - 2
      - 0
    .max_flat_workgroup_size: 1024
    .name:           _ZN2at6native12_GLOBAL__N_136reflection_pad3d_backward_out_kernelIN3c107complexIdEEEEvN5torch10headeronly6detail27GenericPackedTensorAccessorINS8_14TensorAccessorINS3_8ArrayRefIlEET_Lm4ENS7_16DefaultPtrTraitsElEENS_6detail16IndexBoundsCheckILm5ElEESD_Lm5ESE_lEENS9_INSA_ISC_KSD_Lm4ESE_lEESI_SK_Lm5ESE_lEElllll
    .private_segment_fixed_size: 0
    .sgpr_count:     61
    .sgpr_spill_count: 0
    .symbol:         _ZN2at6native12_GLOBAL__N_136reflection_pad3d_backward_out_kernelIN3c107complexIdEEEEvN5torch10headeronly6detail27GenericPackedTensorAccessorINS8_14TensorAccessorINS3_8ArrayRefIlEET_Lm4ENS7_16DefaultPtrTraitsElEENS_6detail16IndexBoundsCheckILm5ElEESD_Lm5ESE_lEENS9_INSA_ISC_KSD_Lm4ESE_lEESI_SK_Lm5ESE_lEElllll.kd
    .uniform_work_group_size: 1
    .uses_dynamic_stack: false
    .vgpr_count:     17
    .vgpr_spill_count: 0
    .wavefront_size: 64
  - .agpr_count:     0
    .args:
      - .offset:         0
        .size:           88
        .value_kind:     by_value
      - .offset:         88
        .size:           88
        .value_kind:     by_value
      - .offset:         176
        .size:           8
        .value_kind:     by_value
      - .offset:         184
        .size:           8
        .value_kind:     by_value
      - .offset:         192
        .size:           8
        .value_kind:     by_value
      - .offset:         200
        .size:           8
        .value_kind:     by_value
      - .offset:         208
        .size:           8
        .value_kind:     by_value
      - .offset:         216
        .size:           4
        .value_kind:     hidden_block_count_x
      - .offset:         220
        .size:           4
        .value_kind:     hidden_block_count_y
      - .offset:         224
        .size:           4
        .value_kind:     hidden_block_count_z
      - .offset:         228
        .size:           2
        .value_kind:     hidden_group_size_x
      - .offset:         230
        .size:           2
        .value_kind:     hidden_group_size_y
      - .offset:         232
        .size:           2
        .value_kind:     hidden_group_size_z
      - .offset:         234
        .size:           2
        .value_kind:     hidden_remainder_x
      - .offset:         236
        .size:           2
        .value_kind:     hidden_remainder_y
      - .offset:         238
        .size:           2
        .value_kind:     hidden_remainder_z
      - .offset:         256
        .size:           8
        .value_kind:     hidden_global_offset_x
      - .offset:         264
        .size:           8
        .value_kind:     hidden_global_offset_y
      - .offset:         272
        .size:           8
        .value_kind:     hidden_global_offset_z
      - .offset:         280
        .size:           2
        .value_kind:     hidden_grid_dims
    .group_segment_fixed_size: 0
    .kernarg_segment_align: 8
    .kernarg_segment_size: 472
    .language:       OpenCL C
    .language_version:
      - 2
      - 0
    .max_flat_workgroup_size: 1024
    .name:           _ZN2at6native12_GLOBAL__N_136reflection_pad3d_backward_out_kernelIN3c107complexIfEEEEvN5torch10headeronly6detail27GenericPackedTensorAccessorINS8_14TensorAccessorINS3_8ArrayRefIlEET_Lm4ENS7_16DefaultPtrTraitsElEENS_6detail16IndexBoundsCheckILm5ElEESD_Lm5ESE_lEENS9_INSA_ISC_KSD_Lm4ESE_lEESI_SK_Lm5ESE_lEElllll
    .private_segment_fixed_size: 0
    .sgpr_count:     61
    .sgpr_spill_count: 0
    .symbol:         _ZN2at6native12_GLOBAL__N_136reflection_pad3d_backward_out_kernelIN3c107complexIfEEEEvN5torch10headeronly6detail27GenericPackedTensorAccessorINS8_14TensorAccessorINS3_8ArrayRefIlEET_Lm4ENS7_16DefaultPtrTraitsElEENS_6detail16IndexBoundsCheckILm5ElEESD_Lm5ESE_lEENS9_INSA_ISC_KSD_Lm4ESE_lEESI_SK_Lm5ESE_lEElllll.kd
    .uniform_work_group_size: 1
    .uses_dynamic_stack: false
    .vgpr_count:     17
    .vgpr_spill_count: 0
    .wavefront_size: 64
  - .agpr_count:     0
    .args:
      - .offset:         0
        .size:           88
        .value_kind:     by_value
      - .offset:         88
        .size:           88
        .value_kind:     by_value
      - .offset:         176
        .size:           8
        .value_kind:     by_value
      - .offset:         184
        .size:           8
        .value_kind:     by_value
      - .offset:         192
        .size:           8
        .value_kind:     by_value
      - .offset:         200
        .size:           8
        .value_kind:     by_value
      - .offset:         208
        .size:           8
        .value_kind:     by_value
      - .offset:         216
        .size:           4
        .value_kind:     hidden_block_count_x
      - .offset:         220
        .size:           4
        .value_kind:     hidden_block_count_y
      - .offset:         224
        .size:           4
        .value_kind:     hidden_block_count_z
      - .offset:         228
        .size:           2
        .value_kind:     hidden_group_size_x
      - .offset:         230
        .size:           2
        .value_kind:     hidden_group_size_y
      - .offset:         232
        .size:           2
        .value_kind:     hidden_group_size_z
      - .offset:         234
        .size:           2
        .value_kind:     hidden_remainder_x
      - .offset:         236
        .size:           2
        .value_kind:     hidden_remainder_y
      - .offset:         238
        .size:           2
        .value_kind:     hidden_remainder_z
      - .offset:         256
        .size:           8
        .value_kind:     hidden_global_offset_x
      - .offset:         264
        .size:           8
        .value_kind:     hidden_global_offset_y
      - .offset:         272
        .size:           8
        .value_kind:     hidden_global_offset_z
      - .offset:         280
        .size:           2
        .value_kind:     hidden_grid_dims
    .group_segment_fixed_size: 0
    .kernarg_segment_align: 8
    .kernarg_segment_size: 472
    .language:       OpenCL C
    .language_version:
      - 2
      - 0
    .max_flat_workgroup_size: 1024
    .name:           _ZN2at6native12_GLOBAL__N_136reflection_pad3d_backward_out_kernelIN3c104HalfEEEvN5torch10headeronly6detail27GenericPackedTensorAccessorINS7_14TensorAccessorINS3_8ArrayRefIlEET_Lm4ENS6_16DefaultPtrTraitsElEENS_6detail16IndexBoundsCheckILm5ElEESC_Lm5ESD_lEENS8_INS9_ISB_KSC_Lm4ESD_lEESH_SJ_Lm5ESD_lEElllll
    .private_segment_fixed_size: 0
    .sgpr_count:     61
    .sgpr_spill_count: 0
    .symbol:         _ZN2at6native12_GLOBAL__N_136reflection_pad3d_backward_out_kernelIN3c104HalfEEEvN5torch10headeronly6detail27GenericPackedTensorAccessorINS7_14TensorAccessorINS3_8ArrayRefIlEET_Lm4ENS6_16DefaultPtrTraitsElEENS_6detail16IndexBoundsCheckILm5ElEESC_Lm5ESD_lEENS8_INS9_ISB_KSC_Lm4ESD_lEESH_SJ_Lm5ESD_lEElllll.kd
    .uniform_work_group_size: 1
    .uses_dynamic_stack: false
    .vgpr_count:     17
    .vgpr_spill_count: 0
    .wavefront_size: 64
  - .agpr_count:     0
    .args:
      - .offset:         0
        .size:           88
        .value_kind:     by_value
      - .offset:         88
        .size:           88
        .value_kind:     by_value
      - .offset:         176
        .size:           8
        .value_kind:     by_value
      - .offset:         184
        .size:           8
        .value_kind:     by_value
      - .offset:         192
        .size:           8
        .value_kind:     by_value
      - .offset:         200
        .size:           8
        .value_kind:     by_value
      - .offset:         208
        .size:           8
        .value_kind:     by_value
      - .offset:         216
        .size:           4
        .value_kind:     hidden_block_count_x
      - .offset:         220
        .size:           4
        .value_kind:     hidden_block_count_y
      - .offset:         224
        .size:           4
        .value_kind:     hidden_block_count_z
      - .offset:         228
        .size:           2
        .value_kind:     hidden_group_size_x
      - .offset:         230
        .size:           2
        .value_kind:     hidden_group_size_y
      - .offset:         232
        .size:           2
        .value_kind:     hidden_group_size_z
      - .offset:         234
        .size:           2
        .value_kind:     hidden_remainder_x
      - .offset:         236
        .size:           2
        .value_kind:     hidden_remainder_y
      - .offset:         238
        .size:           2
        .value_kind:     hidden_remainder_z
      - .offset:         256
        .size:           8
        .value_kind:     hidden_global_offset_x
      - .offset:         264
        .size:           8
        .value_kind:     hidden_global_offset_y
      - .offset:         272
        .size:           8
        .value_kind:     hidden_global_offset_z
      - .offset:         280
        .size:           2
        .value_kind:     hidden_grid_dims
    .group_segment_fixed_size: 0
    .kernarg_segment_align: 8
    .kernarg_segment_size: 472
    .language:       OpenCL C
    .language_version:
      - 2
      - 0
    .max_flat_workgroup_size: 1024
    .name:           _ZN2at6native12_GLOBAL__N_136reflection_pad3d_backward_out_kernelIN3c108BFloat16EEEvN5torch10headeronly6detail27GenericPackedTensorAccessorINS7_14TensorAccessorINS3_8ArrayRefIlEET_Lm4ENS6_16DefaultPtrTraitsElEENS_6detail16IndexBoundsCheckILm5ElEESC_Lm5ESD_lEENS8_INS9_ISB_KSC_Lm4ESD_lEESH_SJ_Lm5ESD_lEElllll
    .private_segment_fixed_size: 0
    .sgpr_count:     61
    .sgpr_spill_count: 0
    .symbol:         _ZN2at6native12_GLOBAL__N_136reflection_pad3d_backward_out_kernelIN3c108BFloat16EEEvN5torch10headeronly6detail27GenericPackedTensorAccessorINS7_14TensorAccessorINS3_8ArrayRefIlEET_Lm4ENS6_16DefaultPtrTraitsElEENS_6detail16IndexBoundsCheckILm5ElEESC_Lm5ESD_lEENS8_INS9_ISB_KSC_Lm4ESD_lEESH_SJ_Lm5ESD_lEElllll.kd
    .uniform_work_group_size: 1
    .uses_dynamic_stack: false
    .vgpr_count:     17
    .vgpr_spill_count: 0
    .wavefront_size: 64
amdhsa.target:   amdgcn-amd-amdhsa--gfx90a
amdhsa.version:
  - 1
  - 2
...

	.end_amdgpu_metadata
